;; amdgpu-corpus repo=pytorch/pytorch kind=compiled arch=gfx90a opt=O3
	.text
	.amdgcn_target "amdgcn-amd-amdhsa--gfx90a"
	.amdhsa_code_object_version 6
	.section	.text._ZN2at6native12_GLOBAL__N_115adaptivemaxpoolIdEEvPKT_PS3_Pliiiiiilllll,"axG",@progbits,_ZN2at6native12_GLOBAL__N_115adaptivemaxpoolIdEEvPKT_PS3_Pliiiiiilllll,comdat
	.globl	_ZN2at6native12_GLOBAL__N_115adaptivemaxpoolIdEEvPKT_PS3_Pliiiiiilllll ; -- Begin function _ZN2at6native12_GLOBAL__N_115adaptivemaxpoolIdEEvPKT_PS3_Pliiiiiilllll
	.p2align	8
	.type	_ZN2at6native12_GLOBAL__N_115adaptivemaxpoolIdEEvPKT_PS3_Pliiiiiilllll,@function
_ZN2at6native12_GLOBAL__N_115adaptivemaxpoolIdEEvPKT_PS3_Pliiiiiilllll: ; @_ZN2at6native12_GLOBAL__N_115adaptivemaxpoolIdEEvPKT_PS3_Pliiiiiilllll
; %bb.0:
	s_load_dwordx2 s[0:1], s[4:5], 0x50
	s_load_dwordx4 s[16:19], s[4:5], 0x18
	s_load_dwordx2 s[24:25], s[4:5], 0x28
	s_mov_b32 s8, 0
	s_waitcnt lgkmcnt(0)
	s_add_u32 s2, s6, s0
	s_addc_u32 s3, 0, s1
	s_ashr_i32 s21, s19, 31
	s_mov_b32 s20, s19
	s_or_b64 s[0:1], s[2:3], s[20:21]
	s_mov_b32 s9, s1
	s_cmp_lg_u64 s[8:9], 0
	s_cbranch_scc0 .LBB0_51
; %bb.1:
	s_add_u32 s0, s20, s21
	s_mov_b32 s10, s21
	s_mov_b32 s11, s21
	s_addc_u32 s1, s21, s21
	s_xor_b64 s[12:13], s[0:1], s[10:11]
	v_cvt_f32_u32_e32 v1, s12
	v_cvt_f32_u32_e32 v2, s13
	s_sub_u32 s0, 0, s12
	s_subb_u32 s1, 0, s13
	v_madmk_f32 v1, v2, 0x4f800000, v1
	v_rcp_f32_e32 v1, v1
	v_mul_f32_e32 v1, 0x5f7ffffc, v1
	v_mul_f32_e32 v2, 0x2f800000, v1
	v_trunc_f32_e32 v2, v2
	v_madmk_f32 v1, v2, 0xcf800000, v1
	v_cvt_u32_f32_e32 v2, v2
	v_cvt_u32_f32_e32 v1, v1
	v_readfirstlane_b32 s6, v2
	v_readfirstlane_b32 s14, v1
	s_mul_i32 s15, s0, s6
	s_mul_hi_u32 s22, s0, s14
	s_mul_i32 s19, s1, s14
	s_add_i32 s15, s22, s15
	s_add_i32 s15, s15, s19
	s_mul_i32 s23, s0, s14
	s_mul_hi_u32 s19, s14, s15
	s_mul_i32 s22, s14, s15
	s_mul_hi_u32 s14, s14, s23
	s_add_u32 s14, s14, s22
	s_addc_u32 s19, 0, s19
	s_mul_hi_u32 s26, s6, s23
	s_mul_i32 s23, s6, s23
	s_add_u32 s14, s14, s23
	s_mul_hi_u32 s22, s6, s15
	s_addc_u32 s14, s19, s26
	s_addc_u32 s19, s22, 0
	s_mul_i32 s15, s6, s15
	s_add_u32 s14, s14, s15
	s_addc_u32 s15, 0, s19
	v_add_co_u32_e32 v1, vcc, s14, v1
	s_cmp_lg_u64 vcc, 0
	s_addc_u32 s6, s6, s15
	v_readfirstlane_b32 s15, v1
	s_mul_i32 s14, s0, s6
	s_mul_hi_u32 s19, s0, s15
	s_add_i32 s14, s19, s14
	s_mul_i32 s1, s1, s15
	s_add_i32 s14, s14, s1
	s_mul_i32 s0, s0, s15
	s_mul_hi_u32 s19, s6, s0
	s_mul_i32 s22, s6, s0
	s_mul_i32 s26, s15, s14
	s_mul_hi_u32 s0, s15, s0
	s_mul_hi_u32 s23, s15, s14
	s_add_u32 s0, s0, s26
	s_addc_u32 s15, 0, s23
	s_add_u32 s0, s0, s22
	s_mul_hi_u32 s1, s6, s14
	s_addc_u32 s0, s15, s19
	s_addc_u32 s1, s1, 0
	s_mul_i32 s14, s6, s14
	s_add_u32 s0, s0, s14
	s_addc_u32 s1, 0, s1
	v_add_co_u32_e32 v1, vcc, s0, v1
	s_cmp_lg_u64 vcc, 0
	s_addc_u32 s6, s6, s1
	s_ashr_i32 s14, s3, 31
	s_add_u32 s0, s2, s14
	s_mov_b32 s15, s14
	s_addc_u32 s1, s3, s14
	s_xor_b64 s[22:23], s[0:1], s[14:15]
	v_readfirstlane_b32 s19, v1
	s_mul_i32 s1, s22, s6
	s_mul_hi_u32 s26, s22, s19
	s_mul_hi_u32 s0, s22, s6
	s_add_u32 s1, s26, s1
	s_addc_u32 s0, 0, s0
	s_mul_hi_u32 s27, s23, s19
	s_mul_i32 s19, s23, s19
	s_add_u32 s1, s1, s19
	s_mul_hi_u32 s26, s23, s6
	s_addc_u32 s0, s0, s27
	s_addc_u32 s1, s26, 0
	s_mul_i32 s6, s23, s6
	s_add_u32 s6, s0, s6
	s_addc_u32 s19, 0, s1
	s_mul_i32 s0, s12, s19
	s_mul_hi_u32 s1, s12, s6
	s_add_i32 s0, s1, s0
	s_mul_i32 s1, s13, s6
	s_add_i32 s26, s0, s1
	s_mul_i32 s1, s12, s6
	v_mov_b32_e32 v1, s1
	s_sub_i32 s0, s23, s26
	v_sub_co_u32_e32 v1, vcc, s22, v1
	s_cmp_lg_u64 vcc, 0
	s_subb_u32 s22, s0, s13
	v_subrev_co_u32_e64 v2, s[0:1], s12, v1
	s_cmp_lg_u64 s[0:1], 0
	s_subb_u32 s0, s22, 0
	s_cmp_ge_u32 s0, s13
	v_readfirstlane_b32 s22, v2
	s_cselect_b32 s1, -1, 0
	s_cmp_ge_u32 s22, s12
	s_cselect_b32 s22, -1, 0
	s_cmp_eq_u32 s0, s13
	s_cselect_b32 s0, s22, s1
	s_add_u32 s1, s6, 1
	s_addc_u32 s22, s19, 0
	s_add_u32 s27, s6, 2
	s_addc_u32 s28, s19, 0
	s_cmp_lg_u32 s0, 0
	s_cselect_b32 s0, s27, s1
	s_cselect_b32 s1, s28, s22
	s_cmp_lg_u64 vcc, 0
	s_subb_u32 s22, s23, s26
	s_cmp_ge_u32 s22, s13
	v_readfirstlane_b32 s26, v1
	s_cselect_b32 s23, -1, 0
	s_cmp_ge_u32 s26, s12
	s_cselect_b32 s12, -1, 0
	s_cmp_eq_u32 s22, s13
	s_cselect_b32 s12, s12, s23
	s_cmp_lg_u32 s12, 0
	s_cselect_b32 s1, s1, s19
	s_cselect_b32 s0, s0, s6
	s_xor_b64 s[10:11], s[14:15], s[10:11]
	s_xor_b64 s[0:1], s[0:1], s[10:11]
	s_sub_u32 s28, s0, s10
	s_subb_u32 s29, s1, s11
	s_cbranch_execnz .LBB0_3
.LBB0_2:
	v_cvt_f32_u32_e32 v1, s20
	s_sub_i32 s0, 0, s20
	s_mov_b32 s29, 0
	v_rcp_iflag_f32_e32 v1, v1
	v_mul_f32_e32 v1, 0x4f7ffffe, v1
	v_cvt_u32_f32_e32 v1, v1
	v_readfirstlane_b32 s1, v1
	s_mul_i32 s0, s0, s1
	s_mul_hi_u32 s0, s1, s0
	s_add_i32 s1, s1, s0
	s_mul_hi_u32 s0, s2, s1
	s_mul_i32 s6, s0, s20
	s_sub_i32 s6, s2, s6
	s_add_i32 s1, s0, 1
	s_sub_i32 s8, s6, s20
	s_cmp_ge_u32 s6, s20
	s_cselect_b32 s0, s1, s0
	s_cselect_b32 s6, s8, s6
	s_add_i32 s1, s0, 1
	s_cmp_ge_u32 s6, s20
	s_cselect_b32 s28, s1, s0
.LBB0_3:
	s_mul_i32 s0, s28, s21
	s_mul_hi_u32 s1, s28, s20
	s_add_i32 s0, s1, s0
	s_mul_i32 s1, s29, s20
	s_add_i32 s0, s0, s1
	s_mul_i32 s1, s28, s20
	s_sub_u32 s1, s2, s1
	s_subb_u32 s0, s3, s0
	s_ashr_i32 s6, s16, 31
	s_mul_i32 s8, s1, s6
	s_mul_hi_u32 s9, s1, s16
	s_add_i32 s8, s9, s8
	s_mul_i32 s0, s0, s16
	s_add_i32 s23, s8, s0
	s_mul_i32 s22, s1, s16
	s_or_b64 s[0:1], s[22:23], s[20:21]
	s_mov_b32 s0, 0
	s_cmp_lg_u64 s[0:1], 0
	s_cbranch_scc0 .LBB0_52
; %bb.4:
	s_add_u32 s0, s20, s21
	s_mov_b32 s10, s21
	s_mov_b32 s11, s21
	s_addc_u32 s1, s21, s21
	s_xor_b64 s[12:13], s[0:1], s[10:11]
	v_cvt_f32_u32_e32 v1, s12
	v_cvt_f32_u32_e32 v2, s13
	s_sub_u32 s0, 0, s12
	s_subb_u32 s1, 0, s13
	v_madmk_f32 v1, v2, 0x4f800000, v1
	v_rcp_f32_e32 v1, v1
	v_mul_f32_e32 v1, 0x5f7ffffc, v1
	v_mul_f32_e32 v2, 0x2f800000, v1
	v_trunc_f32_e32 v2, v2
	v_madmk_f32 v1, v2, 0xcf800000, v1
	v_cvt_u32_f32_e32 v2, v2
	v_cvt_u32_f32_e32 v1, v1
	v_readfirstlane_b32 s14, v2
	v_readfirstlane_b32 s15, v1
	s_mul_i32 s19, s0, s14
	s_mul_hi_u32 s27, s0, s15
	s_mul_i32 s26, s1, s15
	s_add_i32 s19, s27, s19
	s_add_i32 s19, s19, s26
	s_mul_i32 s30, s0, s15
	s_mul_hi_u32 s26, s15, s19
	s_mul_i32 s27, s15, s19
	s_mul_hi_u32 s15, s15, s30
	s_add_u32 s15, s15, s27
	s_addc_u32 s26, 0, s26
	s_mul_hi_u32 s31, s14, s30
	s_mul_i32 s30, s14, s30
	s_add_u32 s15, s15, s30
	s_mul_hi_u32 s27, s14, s19
	s_addc_u32 s15, s26, s31
	s_addc_u32 s26, s27, 0
	s_mul_i32 s19, s14, s19
	s_add_u32 s15, s15, s19
	s_addc_u32 s19, 0, s26
	v_add_co_u32_e32 v1, vcc, s15, v1
	s_cmp_lg_u64 vcc, 0
	s_addc_u32 s14, s14, s19
	v_readfirstlane_b32 s19, v1
	s_mul_i32 s15, s0, s14
	s_mul_hi_u32 s26, s0, s19
	s_add_i32 s15, s26, s15
	s_mul_i32 s1, s1, s19
	s_add_i32 s15, s15, s1
	s_mul_i32 s0, s0, s19
	s_mul_hi_u32 s26, s14, s0
	s_mul_i32 s27, s14, s0
	s_mul_i32 s31, s19, s15
	s_mul_hi_u32 s0, s19, s0
	s_mul_hi_u32 s30, s19, s15
	s_add_u32 s0, s0, s31
	s_addc_u32 s19, 0, s30
	s_add_u32 s0, s0, s27
	s_mul_hi_u32 s1, s14, s15
	s_addc_u32 s0, s19, s26
	s_addc_u32 s1, s1, 0
	s_mul_i32 s15, s14, s15
	s_add_u32 s0, s0, s15
	s_addc_u32 s1, 0, s1
	v_add_co_u32_e32 v1, vcc, s0, v1
	s_cmp_lg_u64 vcc, 0
	s_addc_u32 s19, s14, s1
	s_ashr_i32 s14, s23, 31
	s_add_u32 s0, s22, s14
	s_mov_b32 s15, s14
	s_addc_u32 s1, s23, s14
	s_xor_b64 s[26:27], s[0:1], s[14:15]
	v_readfirstlane_b32 s30, v1
	s_mul_i32 s1, s26, s19
	s_mul_hi_u32 s31, s26, s30
	s_mul_hi_u32 s0, s26, s19
	s_add_u32 s1, s31, s1
	s_addc_u32 s0, 0, s0
	s_mul_hi_u32 s33, s27, s30
	s_mul_i32 s30, s27, s30
	s_add_u32 s1, s1, s30
	s_mul_hi_u32 s31, s27, s19
	s_addc_u32 s0, s0, s33
	s_addc_u32 s1, s31, 0
	s_mul_i32 s19, s27, s19
	s_add_u32 s19, s0, s19
	s_addc_u32 s30, 0, s1
	s_mul_i32 s0, s12, s30
	s_mul_hi_u32 s1, s12, s19
	s_add_i32 s0, s1, s0
	s_mul_i32 s1, s13, s19
	s_add_i32 s31, s0, s1
	s_mul_i32 s1, s12, s19
	v_mov_b32_e32 v1, s1
	s_sub_i32 s0, s27, s31
	v_sub_co_u32_e32 v1, vcc, s26, v1
	s_cmp_lg_u64 vcc, 0
	s_subb_u32 s26, s0, s13
	v_subrev_co_u32_e64 v2, s[0:1], s12, v1
	s_cmp_lg_u64 s[0:1], 0
	s_subb_u32 s0, s26, 0
	s_cmp_ge_u32 s0, s13
	v_readfirstlane_b32 s26, v2
	s_cselect_b32 s1, -1, 0
	s_cmp_ge_u32 s26, s12
	s_cselect_b32 s26, -1, 0
	s_cmp_eq_u32 s0, s13
	s_cselect_b32 s0, s26, s1
	s_add_u32 s1, s19, 1
	s_addc_u32 s26, s30, 0
	s_add_u32 s33, s19, 2
	s_addc_u32 s34, s30, 0
	s_cmp_lg_u32 s0, 0
	s_cselect_b32 s0, s33, s1
	s_cselect_b32 s1, s34, s26
	s_cmp_lg_u64 vcc, 0
	s_subb_u32 s26, s27, s31
	s_cmp_ge_u32 s26, s13
	v_readfirstlane_b32 s31, v1
	s_cselect_b32 s27, -1, 0
	s_cmp_ge_u32 s31, s12
	s_cselect_b32 s12, -1, 0
	s_cmp_eq_u32 s26, s13
	s_cselect_b32 s12, s12, s27
	s_cmp_lg_u32 s12, 0
	s_cselect_b32 s1, s1, s30
	s_cselect_b32 s0, s0, s19
	s_xor_b64 s[10:11], s[14:15], s[10:11]
	s_xor_b64 s[0:1], s[0:1], s[10:11]
	s_sub_u32 s26, s0, s10
	s_subb_u32 s27, s1, s11
	s_load_dword s36, s[4:5], 0x64
	s_cbranch_execnz .LBB0_6
.LBB0_5:
	v_cvt_f32_u32_e32 v1, s20
	s_sub_i32 s0, 0, s20
	s_mov_b32 s27, 0
	v_rcp_iflag_f32_e32 v1, v1
	v_mul_f32_e32 v1, 0x4f7ffffe, v1
	v_cvt_u32_f32_e32 v1, v1
	v_readfirstlane_b32 s1, v1
	s_mul_i32 s0, s0, s1
	s_mul_hi_u32 s0, s1, s0
	s_add_i32 s1, s1, s0
	s_mul_hi_u32 s0, s22, s1
	s_mul_i32 s8, s0, s20
	s_sub_i32 s8, s22, s8
	s_add_i32 s1, s0, 1
	s_sub_i32 s9, s8, s20
	s_cmp_ge_u32 s8, s20
	s_cselect_b32 s0, s1, s0
	s_cselect_b32 s8, s9, s8
	s_add_i32 s1, s0, 1
	s_cmp_ge_u32 s8, s20
	s_cselect_b32 s26, s1, s0
.LBB0_6:
	s_waitcnt lgkmcnt(0)
	s_lshr_b32 s37, s36, 16
	s_mul_i32 s7, s7, s37
	v_bfe_u32 v1, v0, 10, 10
	v_add_u32_e32 v2, s7, v1
	v_cmp_gt_i32_e32 vcc, s24, v2
	s_and_saveexec_b64 s[0:1], vcc
	s_cbranch_execz .LBB0_50
; %bb.7:
	s_add_u32 s0, s22, s16
	s_addc_u32 s1, s23, s6
	s_load_dwordx8 s[8:15], s[4:5], 0x30
	s_add_u32 s6, s0, -1
	s_addc_u32 s7, s1, -1
	s_or_b64 s[0:1], s[6:7], s[20:21]
	s_mov_b32 s0, 0
	s_cmp_lg_u64 s[0:1], 0
	s_mov_b64 s[22:23], -1
	s_cbranch_scc0 .LBB0_53
; %bb.8:
	s_add_u32 s0, s20, s21
	s_mov_b32 s30, s21
	s_mov_b32 s31, s21
	s_addc_u32 s1, s21, s21
	s_xor_b64 s[34:35], s[0:1], s[30:31]
	v_cvt_f32_u32_e32 v1, s34
	v_cvt_f32_u32_e32 v3, s35
	s_sub_u32 s0, 0, s34
	s_subb_u32 s1, 0, s35
	v_madmk_f32 v1, v3, 0x4f800000, v1
	v_rcp_f32_e32 v1, v1
	v_mul_f32_e32 v1, 0x5f7ffffc, v1
	v_mul_f32_e32 v3, 0x2f800000, v1
	v_trunc_f32_e32 v3, v3
	v_madmk_f32 v1, v3, 0xcf800000, v1
	v_cvt_u32_f32_e32 v3, v3
	v_cvt_u32_f32_e32 v1, v1
	v_readfirstlane_b32 s16, v3
	v_readfirstlane_b32 s19, v1
	s_mul_i32 s21, s0, s16
	s_mul_hi_u32 s38, s0, s19
	s_mul_i32 s33, s1, s19
	s_add_i32 s21, s38, s21
	s_add_i32 s21, s21, s33
	s_mul_i32 s39, s0, s19
	s_mul_hi_u32 s33, s19, s21
	s_mul_i32 s38, s19, s21
	s_mul_hi_u32 s19, s19, s39
	s_add_u32 s19, s19, s38
	s_addc_u32 s33, 0, s33
	s_mul_hi_u32 s40, s16, s39
	s_mul_i32 s39, s16, s39
	s_add_u32 s19, s19, s39
	s_mul_hi_u32 s38, s16, s21
	s_addc_u32 s19, s33, s40
	s_addc_u32 s33, s38, 0
	s_mul_i32 s21, s16, s21
	s_add_u32 s19, s19, s21
	s_addc_u32 s21, 0, s33
	v_add_co_u32_e32 v1, vcc, s19, v1
	s_cmp_lg_u64 vcc, 0
	s_addc_u32 s16, s16, s21
	v_readfirstlane_b32 s21, v1
	s_mul_i32 s19, s0, s16
	s_mul_hi_u32 s33, s0, s21
	s_add_i32 s19, s33, s19
	s_mul_i32 s1, s1, s21
	s_add_i32 s19, s19, s1
	s_mul_i32 s0, s0, s21
	s_mul_hi_u32 s33, s16, s0
	s_mul_i32 s38, s16, s0
	s_mul_i32 s40, s21, s19
	s_mul_hi_u32 s0, s21, s0
	s_mul_hi_u32 s39, s21, s19
	s_add_u32 s0, s0, s40
	s_addc_u32 s21, 0, s39
	s_add_u32 s0, s0, s38
	s_mul_hi_u32 s1, s16, s19
	s_addc_u32 s0, s21, s33
	s_addc_u32 s1, s1, 0
	s_mul_i32 s19, s16, s19
	s_add_u32 s0, s0, s19
	s_addc_u32 s1, 0, s1
	v_add_co_u32_e32 v1, vcc, s0, v1
	s_cmp_lg_u64 vcc, 0
	s_addc_u32 s16, s16, s1
	s_ashr_i32 s38, s7, 31
	s_add_u32 s0, s6, s38
	s_mov_b32 s39, s38
	s_addc_u32 s1, s7, s38
	s_xor_b64 s[40:41], s[0:1], s[38:39]
	v_readfirstlane_b32 s7, v1
	s_mul_i32 s1, s40, s16
	s_mul_hi_u32 s19, s40, s7
	s_mul_hi_u32 s0, s40, s16
	s_add_u32 s1, s19, s1
	s_addc_u32 s0, 0, s0
	s_mul_hi_u32 s21, s41, s7
	s_mul_i32 s7, s41, s7
	s_add_u32 s1, s1, s7
	s_mul_hi_u32 s19, s41, s16
	s_addc_u32 s0, s0, s21
	s_addc_u32 s1, s19, 0
	s_mul_i32 s7, s41, s16
	s_add_u32 s7, s0, s7
	s_addc_u32 s0, 0, s1
	s_mul_i32 s0, s34, s0
	s_mul_hi_u32 s1, s34, s7
	s_add_i32 s0, s1, s0
	s_mul_i32 s1, s35, s7
	s_add_i32 s16, s0, s1
	s_mul_i32 s1, s34, s7
	v_mov_b32_e32 v1, s1
	s_sub_i32 s0, s41, s16
	v_sub_co_u32_e32 v1, vcc, s40, v1
	s_cmp_lg_u64 vcc, 0
	s_subb_u32 s19, s0, s35
	v_subrev_co_u32_e64 v3, s[0:1], s34, v1
	s_cmp_lg_u64 s[0:1], 0
	s_subb_u32 s19, s19, 0
	s_cmp_ge_u32 s19, s35
	s_cselect_b32 s21, -1, 0
	v_cmp_le_u32_e64 s[0:1], s34, v3
	s_cmp_eq_u32 s19, s35
	v_cndmask_b32_e64 v3, 0, -1, s[0:1]
	v_mov_b32_e32 v4, s21
	s_cselect_b64 s[0:1], -1, 0
	v_cndmask_b32_e64 v3, v4, v3, s[0:1]
	s_add_u32 s0, s7, 1
	s_add_u32 s1, s7, 2
	v_mov_b32_e32 v4, s0
	v_mov_b32_e32 v5, s1
	v_cmp_ne_u32_e64 s[0:1], 0, v3
	s_cmp_lg_u64 vcc, 0
	v_cndmask_b32_e64 v3, v4, v5, s[0:1]
	s_subb_u32 s0, s41, s16
	s_cmp_ge_u32 s0, s35
	s_cselect_b32 s1, -1, 0
	v_cmp_le_u32_e32 vcc, s34, v1
	s_cmp_eq_u32 s0, s35
	v_cndmask_b32_e64 v1, 0, -1, vcc
	v_mov_b32_e32 v4, s1
	s_cselect_b64 vcc, -1, 0
	v_cndmask_b32_e32 v1, v4, v1, vcc
	v_mov_b32_e32 v4, s7
	v_cmp_ne_u32_e32 vcc, 0, v1
	v_cndmask_b32_e32 v1, v4, v3, vcc
	s_xor_b64 s[0:1], s[38:39], s[30:31]
	v_xor_b32_e32 v1, s0, v1
	v_subrev_co_u32_e32 v4, vcc, s0, v1
	s_load_dword s48, s[4:5], 0x5c
	s_cbranch_execnz .LBB0_10
.LBB0_9:
	v_cvt_f32_u32_e32 v1, s20
	s_sub_i32 s0, 0, s20
	v_rcp_iflag_f32_e32 v1, v1
	v_mul_f32_e32 v1, 0x4f7ffffe, v1
	v_cvt_u32_f32_e32 v1, v1
	v_mul_lo_u32 v3, s0, v1
	v_mul_hi_u32 v3, v1, v3
	v_add_u32_e32 v1, v1, v3
	v_mul_hi_u32 v1, s6, v1
	v_mul_lo_u32 v4, v1, s20
	v_sub_u32_e32 v4, s6, v4
	v_add_u32_e32 v3, 1, v1
	v_subrev_u32_e32 v5, s20, v4
	v_cmp_le_u32_e32 vcc, s20, v4
	v_cndmask_b32_e32 v4, v4, v5, vcc
	v_cndmask_b32_e32 v1, v1, v3, vcc
	v_add_u32_e32 v3, 1, v1
	v_cmp_le_u32_e32 vcc, s20, v4
	v_cndmask_b32_e32 v4, v1, v3, vcc
.LBB0_10:
	s_bfe_i64 s[6:7], s[26:27], 0x200000
	s_load_dwordx4 s[20:23], s[4:5], 0x0
	s_load_dwordx2 s[0:1], s[4:5], 0x10
	s_bfe_i64 s[4:5], s[28:29], 0x200000
	s_mul_i32 s6, s25, s24
	s_mul_hi_i32 s4, s25, s24
	s_mul_i32 s3, s6, s3
	s_mul_hi_u32 s29, s6, s2
	s_add_i32 s3, s29, s3
	s_mul_i32 s4, s4, s2
	s_add_i32 s3, s3, s4
	s_mul_i32 s2, s6, s2
	s_ashr_i32 s16, s24, 31
	s_ashr_i32 s27, s25, 31
	s_lshl_b64 s[2:3], s[2:3], 3
	s_waitcnt lgkmcnt(0)
	s_add_u32 s44, s22, s2
	s_addc_u32 s45, s23, s3
	s_mov_b32 s19, s24
	s_add_u32 s46, s0, s2
	v_and_b32_e32 v20, 0x3ff, v0
	v_subrev_u32_e32 v0, s26, v4
	s_brev_b32 s2, -2
	s_addc_u32 s47, s1, s3
	v_add_u32_e32 v1, 1, v0
	v_cmp_gt_u32_e64 s[2:3], s2, v0
	v_cvt_f32_u32_e32 v0, s19
	s_mul_hi_u32 s4, s10, s26
	s_mul_i32 s6, s10, s7
	s_add_i32 s4, s4, s6
	s_mul_i32 s6, s11, s26
	v_rcp_iflag_f32_e32 v0, v0
	s_add_i32 s7, s4, s6
	s_mul_hi_u32 s4, s8, s28
	s_mul_i32 s5, s8, s5
	s_add_i32 s4, s4, s5
	s_mul_i32 s5, s9, s28
	s_mul_i32 s6, s10, s26
	s_add_i32 s5, s4, s5
	s_mul_i32 s4, s8, s28
	s_and_b32 s49, s36, 0xffff
	s_ashr_i32 s50, s17, 31
	s_ashr_i32 s52, s18, 31
	s_lshl_b64 s[6:7], s[6:7], 3
	s_lshl_b64 s[4:5], s[4:5], 3
	v_mul_f32_e32 v0, 0x4f7ffffe, v0
	s_add_u32 s4, s6, s4
	v_cvt_u32_f32_e32 v22, v0
	s_addc_u32 s5, s7, s5
	s_add_u32 s20, s20, s4
	s_mov_b32 s33, s25
	s_mul_i32 s48, s48, s37
	s_mov_b32 s51, s17
	v_cmp_gt_i32_e64 s[0:1], s25, v20
	s_mul_i32 s53, s26, s17
	v_max_i32_e32 v21, 1, v1
	s_addc_u32 s21, s21, s5
	s_lshl_b64 s[12:13], s[12:13], 3
	s_lshl_b64 s[14:15], s[14:15], 3
	;; [unrolled: 1-line block ×3, first 2 shown]
	s_mul_i32 s54, s18, s17
	s_mov_b64 s[28:29], 0
	v_mov_b32_e32 v1, 0
	s_branch .LBB0_12
.LBB0_11:                               ;   in Loop: Header=BB0_12 Depth=1
	s_or_b64 exec, exec, s[30:31]
	v_add_u32_e32 v2, s48, v2
	v_cmp_le_i32_e32 vcc, s24, v2
	s_or_b64 s[28:29], vcc, s[28:29]
	s_andn2_b64 exec, exec, s[28:29]
	s_cbranch_execz .LBB0_50
.LBB0_12:                               ; =>This Loop Header: Depth=1
                                        ;     Child Loop BB0_27 Depth 2
                                        ;       Child Loop BB0_43 Depth 3
                                        ;         Child Loop BB0_46 Depth 4
                                        ;           Child Loop BB0_48 Depth 5
	v_ashrrev_i32_e32 v3, 31, v2
	v_or_b32_e32 v5, s16, v3
	v_mov_b32_e32 v4, v1
	v_cmp_ne_u64_e32 vcc, 0, v[4:5]
                                        ; implicit-def: $vgpr6_vgpr7
	s_and_saveexec_b64 s[4:5], vcc
	s_xor_b64 s[4:5], exec, s[4:5]
	s_cbranch_execz .LBB0_14
; %bb.13:                               ;   in Loop: Header=BB0_12 Depth=1
	s_ashr_i32 s6, s19, 31
	s_add_i32 s7, s19, s6
	s_xor_b32 s7, s7, s6
	v_cvt_f32_u32_e32 v0, s7
	s_sub_i32 s8, 0, s7
	v_ashrrev_i32_e32 v4, 31, v2
	v_add_u32_e32 v5, v2, v4
	v_rcp_iflag_f32_e32 v0, v0
	v_xor_b32_e32 v5, v5, v4
	v_xor_b32_e32 v4, s6, v4
	v_mul_f32_e32 v0, 0x4f7ffffe, v0
	v_cvt_u32_f32_e32 v0, v0
	v_mul_lo_u32 v6, s8, v0
	v_mul_hi_u32 v6, v0, v6
	v_add_u32_e32 v0, v0, v6
	v_mul_hi_u32 v0, v5, v0
	v_mul_lo_u32 v6, v0, s7
	v_sub_u32_e32 v5, v5, v6
	v_add_u32_e32 v7, 1, v0
	v_subrev_u32_e32 v6, s7, v5
	v_cmp_le_u32_e32 vcc, s7, v5
	v_cndmask_b32_e32 v5, v5, v6, vcc
	v_cndmask_b32_e32 v0, v0, v7, vcc
	v_add_u32_e32 v6, 1, v0
	v_cmp_le_u32_e32 vcc, s7, v5
	v_cndmask_b32_e32 v0, v0, v6, vcc
	v_xor_b32_e32 v0, v0, v4
	v_sub_u32_e32 v6, v0, v4
	v_ashrrev_i32_e32 v7, 31, v6
.LBB0_14:                               ;   in Loop: Header=BB0_12 Depth=1
	s_andn2_saveexec_b64 s[4:5], s[4:5]
	s_cbranch_execz .LBB0_16
; %bb.15:                               ;   in Loop: Header=BB0_12 Depth=1
	s_sub_i32 s6, 0, s19
	v_mul_lo_u32 v0, s6, v22
	v_mul_hi_u32 v0, v22, v0
	v_add_u32_e32 v0, v22, v0
	v_mul_hi_u32 v0, v2, v0
	v_mul_lo_u32 v4, v0, s19
	v_sub_u32_e32 v4, v2, v4
	v_subrev_u32_e32 v5, s19, v4
	v_cmp_le_u32_e32 vcc, s19, v4
	v_cndmask_b32_e32 v4, v4, v5, vcc
	v_add_u32_e32 v5, 1, v0
	v_cndmask_b32_e32 v0, v0, v5, vcc
	v_add_u32_e32 v5, 1, v0
	v_cmp_le_u32_e32 vcc, s19, v4
	v_cndmask_b32_e32 v0, v0, v5, vcc
	v_pk_mov_b32 v[6:7], v[0:1], v[0:1] op_sel:[0,1]
.LBB0_16:                               ;   in Loop: Header=BB0_12 Depth=1
	s_or_b64 exec, exec, s[4:5]
	v_mul_lo_u32 v0, v7, s19
	v_mul_lo_u32 v7, v6, s16
	v_mad_u64_u32 v[4:5], s[4:5], v6, s19, 0
	v_add3_u32 v0, v5, v7, v0
	v_sub_co_u32_e32 v4, vcc, v2, v4
	v_subb_co_u32_e32 v0, vcc, v3, v0, vcc
	v_mul_lo_u32 v0, v0, s51
	v_mul_lo_u32 v7, v4, s50
	v_mad_u64_u32 v[4:5], s[4:5], v4, s51, 0
	v_add3_u32 v5, v5, v7, v0
	v_or_b32_e32 v9, s16, v5
	v_mov_b32_e32 v8, v1
	v_cmp_ne_u64_e32 vcc, 0, v[8:9]
                                        ; implicit-def: $vgpr8_vgpr9
	s_and_saveexec_b64 s[4:5], vcc
	s_xor_b64 s[6:7], exec, s[4:5]
	s_cbranch_execz .LBB0_18
; %bb.17:                               ;   in Loop: Header=BB0_12 Depth=1
	s_add_u32 s4, s19, s16
	s_mov_b32 s8, s16
	s_mov_b32 s9, s16
	s_addc_u32 s5, s16, s16
	s_xor_b64 s[10:11], s[4:5], s[8:9]
	v_cvt_f32_u32_e32 v0, s10
	v_cvt_f32_u32_e32 v7, s11
	s_sub_u32 s4, 0, s10
	s_subb_u32 s5, 0, s11
	v_mac_f32_e32 v0, 0x4f800000, v7
	v_rcp_f32_e32 v0, v0
	v_mul_f32_e32 v0, 0x5f7ffffc, v0
	v_mul_f32_e32 v7, 0x2f800000, v0
	v_trunc_f32_e32 v7, v7
	v_mac_f32_e32 v0, 0xcf800000, v7
	v_cvt_u32_f32_e32 v7, v7
	v_cvt_u32_f32_e32 v0, v0
	v_mul_lo_u32 v8, s4, v7
	v_mul_hi_u32 v10, s4, v0
	v_mul_lo_u32 v9, s5, v0
	v_add_u32_e32 v8, v10, v8
	v_mul_lo_u32 v11, s4, v0
	v_add_u32_e32 v8, v8, v9
	v_mul_lo_u32 v10, v0, v8
	v_mul_hi_u32 v12, v0, v11
	v_mul_hi_u32 v9, v0, v8
	v_add_co_u32_e32 v10, vcc, v12, v10
	v_addc_co_u32_e32 v9, vcc, 0, v9, vcc
	v_mul_hi_u32 v13, v7, v11
	v_mul_lo_u32 v11, v7, v11
	v_add_co_u32_e32 v10, vcc, v10, v11
	v_mul_hi_u32 v12, v7, v8
	v_addc_co_u32_e32 v9, vcc, v9, v13, vcc
	v_addc_co_u32_e32 v10, vcc, 0, v12, vcc
	v_mul_lo_u32 v8, v7, v8
	v_add_co_u32_e32 v8, vcc, v9, v8
	v_addc_co_u32_e32 v9, vcc, 0, v10, vcc
	v_add_co_u32_e32 v0, vcc, v0, v8
	v_addc_co_u32_e32 v7, vcc, v7, v9, vcc
	v_mul_lo_u32 v8, s4, v7
	v_mul_hi_u32 v9, s4, v0
	v_add_u32_e32 v8, v9, v8
	v_mul_lo_u32 v9, s5, v0
	v_add_u32_e32 v8, v8, v9
	v_mul_lo_u32 v10, s4, v0
	v_mul_hi_u32 v11, v7, v10
	v_mul_lo_u32 v12, v7, v10
	v_mul_lo_u32 v14, v0, v8
	v_mul_hi_u32 v10, v0, v10
	v_mul_hi_u32 v13, v0, v8
	v_add_co_u32_e32 v10, vcc, v10, v14
	v_addc_co_u32_e32 v13, vcc, 0, v13, vcc
	v_add_co_u32_e32 v10, vcc, v10, v12
	v_mul_hi_u32 v9, v7, v8
	v_addc_co_u32_e32 v10, vcc, v13, v11, vcc
	v_addc_co_u32_e32 v9, vcc, 0, v9, vcc
	v_mul_lo_u32 v8, v7, v8
	v_add_co_u32_e32 v8, vcc, v10, v8
	v_addc_co_u32_e32 v9, vcc, 0, v9, vcc
	v_add_co_u32_e32 v0, vcc, v0, v8
	v_addc_co_u32_e32 v7, vcc, v7, v9, vcc
	v_ashrrev_i32_e32 v10, 31, v5
	v_add_co_u32_e32 v4, vcc, v4, v10
	v_addc_co_u32_e32 v5, vcc, v5, v10, vcc
	v_xor_b32_e32 v12, v4, v10
	v_xor_b32_e32 v11, v5, v10
	v_mad_u64_u32 v[4:5], s[4:5], v12, v7, 0
	v_mul_hi_u32 v8, v12, v0
	v_add_co_u32_e32 v13, vcc, v8, v4
	v_addc_co_u32_e32 v14, vcc, 0, v5, vcc
	v_mad_u64_u32 v[8:9], s[4:5], v11, v0, 0
	v_add_co_u32_e32 v0, vcc, v13, v8
	v_mad_u64_u32 v[4:5], s[4:5], v11, v7, 0
	v_addc_co_u32_e32 v0, vcc, v14, v9, vcc
	v_addc_co_u32_e32 v5, vcc, 0, v5, vcc
	v_add_co_u32_e32 v0, vcc, v0, v4
	v_addc_co_u32_e32 v7, vcc, 0, v5, vcc
	v_mul_lo_u32 v8, s11, v0
	v_mul_lo_u32 v9, s10, v7
	v_mad_u64_u32 v[4:5], s[4:5], s10, v0, 0
	v_add3_u32 v5, v5, v9, v8
	v_sub_u32_e32 v8, v11, v5
	v_mov_b32_e32 v9, s11
	v_sub_co_u32_e32 v4, vcc, v12, v4
	v_subb_co_u32_e64 v8, s[4:5], v8, v9, vcc
	v_subrev_co_u32_e64 v9, s[4:5], s10, v4
	v_subbrev_co_u32_e64 v8, s[4:5], 0, v8, s[4:5]
	v_cmp_le_u32_e64 s[4:5], s11, v8
	v_cndmask_b32_e64 v12, 0, -1, s[4:5]
	v_cmp_le_u32_e64 s[4:5], s10, v9
	v_cndmask_b32_e64 v9, 0, -1, s[4:5]
	v_cmp_eq_u32_e64 s[4:5], s11, v8
	v_cndmask_b32_e64 v8, v12, v9, s[4:5]
	v_add_co_u32_e64 v9, s[4:5], 2, v0
	v_subb_co_u32_e32 v5, vcc, v11, v5, vcc
	v_addc_co_u32_e64 v12, s[4:5], 0, v7, s[4:5]
	v_cmp_le_u32_e32 vcc, s11, v5
	v_add_co_u32_e64 v13, s[4:5], 1, v0
	v_cndmask_b32_e64 v11, 0, -1, vcc
	v_cmp_le_u32_e32 vcc, s10, v4
	v_addc_co_u32_e64 v14, s[4:5], 0, v7, s[4:5]
	v_cndmask_b32_e64 v4, 0, -1, vcc
	v_cmp_eq_u32_e32 vcc, s11, v5
	v_cmp_ne_u32_e64 s[4:5], 0, v8
	v_cndmask_b32_e32 v4, v11, v4, vcc
	v_cndmask_b32_e64 v8, v14, v12, s[4:5]
	v_cmp_ne_u32_e32 vcc, 0, v4
	v_cndmask_b32_e64 v5, v13, v9, s[4:5]
	v_cndmask_b32_e32 v4, v7, v8, vcc
	v_cndmask_b32_e32 v0, v0, v5, vcc
	v_xor_b32_e32 v7, s8, v10
	v_xor_b32_e32 v5, s9, v10
	;; [unrolled: 1-line block ×4, first 2 shown]
	v_sub_co_u32_e32 v8, vcc, v0, v7
	v_subb_co_u32_e32 v9, vcc, v4, v5, vcc
                                        ; implicit-def: $vgpr4_vgpr5
.LBB0_18:                               ;   in Loop: Header=BB0_12 Depth=1
	s_andn2_saveexec_b64 s[4:5], s[6:7]
	s_cbranch_execz .LBB0_20
; %bb.19:                               ;   in Loop: Header=BB0_12 Depth=1
	s_sub_i32 s6, 0, s19
	v_mul_lo_u32 v0, s6, v22
	v_mul_hi_u32 v0, v22, v0
	v_add_u32_e32 v0, v22, v0
	v_mul_hi_u32 v0, v4, v0
	v_mul_lo_u32 v5, v0, s19
	v_sub_u32_e32 v4, v4, v5
	v_subrev_u32_e32 v5, s19, v4
	v_cmp_le_u32_e32 vcc, s19, v4
	v_cndmask_b32_e32 v4, v4, v5, vcc
	v_add_u32_e32 v5, 1, v0
	v_cndmask_b32_e32 v0, v0, v5, vcc
	v_add_u32_e32 v5, 1, v0
	v_cmp_le_u32_e32 vcc, s19, v4
	v_cndmask_b32_e32 v0, v0, v5, vcc
	v_pk_mov_b32 v[8:9], v[0:1], v[0:1] op_sel:[0,1]
.LBB0_20:                               ;   in Loop: Header=BB0_12 Depth=1
	s_or_b64 exec, exec, s[4:5]
	v_add_co_u32_e32 v0, vcc, 1, v2
	v_addc_co_u32_e32 v3, vcc, 0, v3, vcc
	v_mul_lo_u32 v7, v0, s50
	v_mul_lo_u32 v3, v3, s51
	v_mad_u64_u32 v[4:5], s[4:5], v0, s51, -1
	v_add3_u32 v5, v3, v5, v7
	v_or_b32_e32 v11, s16, v5
	v_mov_b32_e32 v10, v1
	v_cmp_ne_u64_e32 vcc, 0, v[10:11]
                                        ; implicit-def: $vgpr10_vgpr11
	s_and_saveexec_b64 s[4:5], vcc
	s_xor_b64 s[6:7], exec, s[4:5]
	s_cbranch_execnz .LBB0_23
; %bb.21:                               ;   in Loop: Header=BB0_12 Depth=1
	s_andn2_saveexec_b64 s[4:5], s[6:7]
	s_cbranch_execnz .LBB0_24
.LBB0_22:                               ;   in Loop: Header=BB0_12 Depth=1
	s_or_b64 exec, exec, s[4:5]
	s_and_saveexec_b64 s[30:31], s[0:1]
	s_cbranch_execz .LBB0_11
	s_branch .LBB0_25
.LBB0_23:                               ;   in Loop: Header=BB0_12 Depth=1
	s_add_u32 s4, s19, s16
	s_mov_b32 s8, s16
	s_mov_b32 s9, s16
	s_addc_u32 s5, s16, s16
	s_xor_b64 s[10:11], s[4:5], s[8:9]
	v_cvt_f32_u32_e32 v0, s10
	v_cvt_f32_u32_e32 v3, s11
	s_sub_u32 s4, 0, s10
	s_subb_u32 s5, 0, s11
	v_mac_f32_e32 v0, 0x4f800000, v3
	v_rcp_f32_e32 v0, v0
	v_mul_f32_e32 v0, 0x5f7ffffc, v0
	v_mul_f32_e32 v3, 0x2f800000, v0
	v_trunc_f32_e32 v3, v3
	v_mac_f32_e32 v0, 0xcf800000, v3
	v_cvt_u32_f32_e32 v3, v3
	v_cvt_u32_f32_e32 v0, v0
	v_mul_lo_u32 v7, s4, v3
	v_mul_hi_u32 v11, s4, v0
	v_mul_lo_u32 v10, s5, v0
	v_add_u32_e32 v7, v11, v7
	v_mul_lo_u32 v12, s4, v0
	v_add_u32_e32 v7, v7, v10
	v_mul_lo_u32 v11, v0, v7
	v_mul_hi_u32 v13, v0, v12
	v_mul_hi_u32 v10, v0, v7
	v_add_co_u32_e32 v11, vcc, v13, v11
	v_addc_co_u32_e32 v10, vcc, 0, v10, vcc
	v_mul_hi_u32 v14, v3, v12
	v_mul_lo_u32 v12, v3, v12
	v_add_co_u32_e32 v11, vcc, v11, v12
	v_mul_hi_u32 v13, v3, v7
	v_addc_co_u32_e32 v10, vcc, v10, v14, vcc
	v_addc_co_u32_e32 v11, vcc, 0, v13, vcc
	v_mul_lo_u32 v7, v3, v7
	v_add_co_u32_e32 v7, vcc, v10, v7
	v_addc_co_u32_e32 v10, vcc, 0, v11, vcc
	v_add_co_u32_e32 v0, vcc, v0, v7
	v_addc_co_u32_e32 v3, vcc, v3, v10, vcc
	v_mul_lo_u32 v7, s4, v3
	v_mul_hi_u32 v10, s4, v0
	v_add_u32_e32 v7, v10, v7
	v_mul_lo_u32 v10, s5, v0
	v_add_u32_e32 v7, v7, v10
	v_mul_lo_u32 v11, s4, v0
	v_mul_hi_u32 v12, v3, v11
	v_mul_lo_u32 v13, v3, v11
	v_mul_lo_u32 v15, v0, v7
	v_mul_hi_u32 v11, v0, v11
	v_mul_hi_u32 v14, v0, v7
	v_add_co_u32_e32 v11, vcc, v11, v15
	v_addc_co_u32_e32 v14, vcc, 0, v14, vcc
	v_add_co_u32_e32 v11, vcc, v11, v13
	v_mul_hi_u32 v10, v3, v7
	v_addc_co_u32_e32 v11, vcc, v14, v12, vcc
	v_addc_co_u32_e32 v10, vcc, 0, v10, vcc
	v_mul_lo_u32 v7, v3, v7
	v_add_co_u32_e32 v7, vcc, v11, v7
	v_addc_co_u32_e32 v10, vcc, 0, v10, vcc
	v_add_co_u32_e32 v0, vcc, v0, v7
	v_addc_co_u32_e32 v3, vcc, v3, v10, vcc
	v_ashrrev_i32_e32 v7, 31, v5
	v_add_co_u32_e32 v4, vcc, v4, v7
	v_addc_co_u32_e32 v5, vcc, v5, v7, vcc
	v_xor_b32_e32 v13, v4, v7
	v_xor_b32_e32 v12, v5, v7
	v_mad_u64_u32 v[4:5], s[4:5], v13, v3, 0
	v_mul_hi_u32 v10, v13, v0
	v_add_co_u32_e32 v14, vcc, v10, v4
	v_addc_co_u32_e32 v15, vcc, 0, v5, vcc
	v_mad_u64_u32 v[10:11], s[4:5], v12, v0, 0
	v_add_co_u32_e32 v0, vcc, v14, v10
	v_mad_u64_u32 v[4:5], s[4:5], v12, v3, 0
	v_addc_co_u32_e32 v0, vcc, v15, v11, vcc
	v_addc_co_u32_e32 v3, vcc, 0, v5, vcc
	v_add_co_u32_e32 v0, vcc, v0, v4
	v_addc_co_u32_e32 v3, vcc, 0, v3, vcc
	v_mul_lo_u32 v10, s11, v0
	v_mul_lo_u32 v3, s10, v3
	v_mad_u64_u32 v[4:5], s[4:5], s10, v0, 0
	v_add3_u32 v3, v5, v3, v10
	v_sub_u32_e32 v5, v12, v3
	v_mov_b32_e32 v10, s11
	v_sub_co_u32_e32 v4, vcc, v13, v4
	v_subb_co_u32_e64 v5, s[4:5], v5, v10, vcc
	v_subrev_co_u32_e64 v10, s[4:5], s10, v4
	v_subbrev_co_u32_e64 v5, s[4:5], 0, v5, s[4:5]
	v_cmp_le_u32_e64 s[4:5], s11, v5
	v_subb_co_u32_e32 v3, vcc, v12, v3, vcc
	v_cndmask_b32_e64 v11, 0, -1, s[4:5]
	v_cmp_le_u32_e64 s[4:5], s10, v10
	v_cmp_le_u32_e32 vcc, s11, v3
	v_cndmask_b32_e64 v10, 0, -1, s[4:5]
	v_cmp_eq_u32_e64 s[4:5], s11, v5
	v_cndmask_b32_e64 v12, 0, -1, vcc
	v_cmp_le_u32_e32 vcc, s10, v4
	v_cndmask_b32_e64 v5, v11, v10, s[4:5]
	v_cndmask_b32_e64 v4, 0, -1, vcc
	v_cmp_eq_u32_e32 vcc, s11, v3
	v_add_co_u32_e64 v10, s[4:5], 2, v0
	v_add_co_u32_e64 v11, s[4:5], 1, v0
	v_cndmask_b32_e32 v3, v12, v4, vcc
	v_cmp_ne_u32_e32 vcc, 0, v5
	v_cndmask_b32_e32 v4, v11, v10, vcc
	v_cmp_ne_u32_e32 vcc, 0, v3
	v_cndmask_b32_e32 v0, v0, v4, vcc
	v_xor_b32_e32 v3, s8, v7
	v_xor_b32_e32 v0, v0, v3
	v_sub_co_u32_e32 v10, vcc, v0, v3
                                        ; implicit-def: $vgpr4_vgpr5
	s_andn2_saveexec_b64 s[4:5], s[6:7]
	s_cbranch_execz .LBB0_22
.LBB0_24:                               ;   in Loop: Header=BB0_12 Depth=1
	s_sub_i32 s6, 0, s19
	v_mul_lo_u32 v0, s6, v22
	v_mul_hi_u32 v0, v22, v0
	v_add_u32_e32 v0, v22, v0
	v_mul_hi_u32 v0, v4, v0
	v_mul_lo_u32 v3, v0, s19
	v_sub_u32_e32 v3, v4, v3
	v_subrev_u32_e32 v4, s19, v3
	v_cmp_le_u32_e32 vcc, s19, v3
	v_cndmask_b32_e32 v3, v3, v4, vcc
	v_add_u32_e32 v4, 1, v0
	v_cndmask_b32_e32 v0, v0, v4, vcc
	v_add_u32_e32 v4, 1, v0
	v_cmp_le_u32_e32 vcc, s19, v3
	v_cndmask_b32_e32 v10, v0, v4, vcc
	s_or_b64 exec, exec, s[4:5]
	s_and_saveexec_b64 s[30:31], s[0:1]
	s_cbranch_execz .LBB0_11
.LBB0_25:                               ;   in Loop: Header=BB0_12 Depth=1
	v_mad_u64_u32 v[4:5], s[4:5], v6, s51, v[8:9]
	v_sub_u32_e32 v0, v10, v4
	v_mul_lo_u32 v10, v2, s25
	v_ashrrev_i32_e32 v11, 31, v10
	v_lshlrev_b64 v[10:11], 3, v[10:11]
	v_mov_b32_e32 v5, s45
	v_add_co_u32_e32 v23, vcc, s44, v10
	v_addc_co_u32_e32 v24, vcc, v5, v11, vcc
	v_mov_b32_e32 v5, s47
	v_add_co_u32_e32 v25, vcc, s46, v10
	v_add_u32_e32 v3, 1, v0
	v_ashrrev_i32_e32 v0, 31, v4
	v_addc_co_u32_e32 v26, vcc, v5, v11, vcc
	v_add_u32_e32 v5, s53, v4
	v_pk_mov_b32 v[10:11], s[20:21], s[20:21] op_sel:[0,1]
	v_mul_lo_u32 v27, v5, s18
	v_mul_lo_u32 v0, s12, v0
	;; [unrolled: 1-line block ×3, first 2 shown]
	v_mad_u64_u32 v[4:5], s[6:7], s12, v4, v[10:11]
	v_add3_u32 v5, v7, v5, v0
	v_add_u32_e32 v0, s26, v6
	v_cmp_lt_i32_e64 s[4:5], 0, v3
	v_mad_u64_u32 v[6:7], s[6:7], s17, v0, v[8:9]
	s_mov_b64 s[34:35], 0
	v_mov_b32_e32 v0, v20
	s_branch .LBB0_27
.LBB0_26:                               ;   in Loop: Header=BB0_27 Depth=2
	v_lshlrev_b64 v[8:9], 3, v[0:1]
	v_add_co_u32_e32 v10, vcc, v23, v8
	v_addc_co_u32_e32 v11, vcc, v24, v9, vcc
	v_add_co_u32_e32 v8, vcc, v25, v8
	v_addc_co_u32_e32 v9, vcc, v26, v9, vcc
	v_add_u32_e32 v0, s49, v0
	v_cmp_le_i32_e32 vcc, s25, v0
	s_or_b64 s[34:35], vcc, s[34:35]
	global_store_dwordx2 v[10:11], v[14:15], off
	global_store_dwordx2 v[8:9], v[12:13], off
	s_andn2_b64 exec, exec, s[34:35]
	s_cbranch_execz .LBB0_11
.LBB0_27:                               ;   Parent Loop BB0_12 Depth=1
                                        ; =>  This Loop Header: Depth=2
                                        ;       Child Loop BB0_43 Depth 3
                                        ;         Child Loop BB0_46 Depth 4
                                        ;           Child Loop BB0_48 Depth 5
	v_or_b32_e64 v9, 0, s27
	v_mov_b32_e32 v8, v1
	v_cmp_ne_u64_e32 vcc, 0, v[8:9]
                                        ; implicit-def: $vgpr8_vgpr9
	s_and_saveexec_b64 s[6:7], vcc
	s_xor_b64 s[8:9], exec, s[6:7]
	s_cbranch_execz .LBB0_29
; %bb.28:                               ;   in Loop: Header=BB0_27 Depth=2
	s_add_u32 s6, s33, s27
	s_mov_b32 s10, s27
	s_mov_b32 s11, s27
	s_addc_u32 s7, s27, s27
	s_xor_b64 s[36:37], s[6:7], s[10:11]
	v_cvt_f32_u32_e32 v7, s36
	v_cvt_f32_u32_e32 v8, s37
	s_sub_u32 s6, 0, s36
	s_subb_u32 s7, 0, s37
	v_mac_f32_e32 v7, 0x4f800000, v8
	v_rcp_f32_e32 v7, v7
	v_mul_f32_e32 v7, 0x5f7ffffc, v7
	v_mul_f32_e32 v8, 0x2f800000, v7
	v_trunc_f32_e32 v8, v8
	v_mac_f32_e32 v7, 0xcf800000, v8
	v_cvt_u32_f32_e32 v8, v8
	v_cvt_u32_f32_e32 v7, v7
	v_mul_lo_u32 v9, s6, v8
	v_mul_hi_u32 v11, s6, v7
	v_mul_lo_u32 v10, s7, v7
	v_add_u32_e32 v9, v11, v9
	v_mul_lo_u32 v12, s6, v7
	v_add_u32_e32 v9, v9, v10
	v_mul_lo_u32 v11, v7, v9
	v_mul_hi_u32 v13, v7, v12
	v_mul_hi_u32 v10, v7, v9
	v_add_co_u32_e32 v11, vcc, v13, v11
	v_addc_co_u32_e32 v10, vcc, 0, v10, vcc
	v_mul_hi_u32 v14, v8, v12
	v_mul_lo_u32 v12, v8, v12
	v_add_co_u32_e32 v11, vcc, v11, v12
	v_mul_hi_u32 v13, v8, v9
	v_addc_co_u32_e32 v10, vcc, v10, v14, vcc
	v_addc_co_u32_e32 v11, vcc, 0, v13, vcc
	v_mul_lo_u32 v9, v8, v9
	v_add_co_u32_e32 v9, vcc, v10, v9
	v_addc_co_u32_e32 v10, vcc, 0, v11, vcc
	v_add_co_u32_e32 v7, vcc, v7, v9
	v_addc_co_u32_e32 v8, vcc, v8, v10, vcc
	v_mul_lo_u32 v9, s6, v8
	v_mul_hi_u32 v10, s6, v7
	v_add_u32_e32 v9, v10, v9
	v_mul_lo_u32 v10, s7, v7
	v_add_u32_e32 v9, v9, v10
	v_mul_lo_u32 v11, s6, v7
	v_mul_hi_u32 v12, v8, v11
	v_mul_lo_u32 v13, v8, v11
	v_mul_lo_u32 v15, v7, v9
	v_mul_hi_u32 v11, v7, v11
	v_mul_hi_u32 v14, v7, v9
	v_add_co_u32_e32 v11, vcc, v11, v15
	v_addc_co_u32_e32 v14, vcc, 0, v14, vcc
	v_add_co_u32_e32 v11, vcc, v11, v13
	v_mul_hi_u32 v10, v8, v9
	v_addc_co_u32_e32 v11, vcc, v14, v12, vcc
	v_addc_co_u32_e32 v10, vcc, 0, v10, vcc
	v_mul_lo_u32 v9, v8, v9
	v_add_co_u32_e32 v9, vcc, v11, v9
	v_addc_co_u32_e32 v10, vcc, 0, v10, vcc
	v_add_co_u32_e32 v7, vcc, v7, v9
	v_addc_co_u32_e32 v10, vcc, v8, v10, vcc
	v_ashrrev_i32_e64 v12, 31, 0
	v_add_co_u32_e32 v8, vcc, v0, v12
	v_addc_co_u32_e32 v9, vcc, 0, v12, vcc
	v_xor_b32_e32 v14, v8, v12
	v_xor_b32_e32 v13, v9, v12
	v_mad_u64_u32 v[8:9], s[6:7], v14, v10, 0
	v_mul_hi_u32 v11, v14, v7
	v_add_co_u32_e32 v15, vcc, v11, v8
	v_addc_co_u32_e32 v16, vcc, 0, v9, vcc
	v_mad_u64_u32 v[8:9], s[6:7], v13, v10, 0
	v_mad_u64_u32 v[10:11], s[6:7], v13, v7, 0
	v_add_co_u32_e32 v7, vcc, v15, v10
	v_addc_co_u32_e32 v7, vcc, v16, v11, vcc
	v_addc_co_u32_e32 v9, vcc, 0, v9, vcc
	v_add_co_u32_e32 v7, vcc, v7, v8
	v_addc_co_u32_e32 v10, vcc, 0, v9, vcc
	v_mul_lo_u32 v11, s37, v7
	v_mul_lo_u32 v15, s36, v10
	v_mad_u64_u32 v[8:9], s[6:7], s36, v7, 0
	v_add3_u32 v9, v9, v15, v11
	v_sub_u32_e32 v11, v13, v9
	v_mov_b32_e32 v15, s37
	v_sub_co_u32_e32 v8, vcc, v14, v8
	v_subb_co_u32_e64 v11, s[6:7], v11, v15, vcc
	v_subrev_co_u32_e64 v14, s[6:7], s36, v8
	v_subbrev_co_u32_e64 v11, s[6:7], 0, v11, s[6:7]
	v_cmp_le_u32_e64 s[6:7], s37, v11
	v_cndmask_b32_e64 v15, 0, -1, s[6:7]
	v_cmp_le_u32_e64 s[6:7], s36, v14
	v_cndmask_b32_e64 v14, 0, -1, s[6:7]
	v_cmp_eq_u32_e64 s[6:7], s37, v11
	v_cndmask_b32_e64 v11, v15, v14, s[6:7]
	v_add_co_u32_e64 v14, s[6:7], 2, v7
	v_subb_co_u32_e32 v9, vcc, v13, v9, vcc
	v_addc_co_u32_e64 v15, s[6:7], 0, v10, s[6:7]
	v_cmp_le_u32_e32 vcc, s37, v9
	v_add_co_u32_e64 v16, s[6:7], 1, v7
	v_cndmask_b32_e64 v13, 0, -1, vcc
	v_cmp_le_u32_e32 vcc, s36, v8
	v_addc_co_u32_e64 v17, s[6:7], 0, v10, s[6:7]
	v_cndmask_b32_e64 v8, 0, -1, vcc
	v_cmp_eq_u32_e32 vcc, s37, v9
	v_cmp_ne_u32_e64 s[6:7], 0, v11
	v_cndmask_b32_e32 v8, v13, v8, vcc
	v_cndmask_b32_e64 v11, v17, v15, s[6:7]
	v_cmp_ne_u32_e32 vcc, 0, v8
	v_cndmask_b32_e64 v9, v16, v14, s[6:7]
	v_cndmask_b32_e32 v8, v10, v11, vcc
	v_cndmask_b32_e32 v7, v7, v9, vcc
	v_xor_b32_e32 v10, s10, v12
	v_xor_b32_e32 v9, s11, v12
	;; [unrolled: 1-line block ×4, first 2 shown]
	v_sub_co_u32_e32 v8, vcc, v7, v10
	v_subb_co_u32_e32 v9, vcc, v11, v9, vcc
.LBB0_29:                               ;   in Loop: Header=BB0_27 Depth=2
	s_or_saveexec_b64 s[6:7], s[8:9]
	v_cvt_f32_u32_e32 v7, s33
	s_xor_b64 exec, exec, s[6:7]
	s_cbranch_execz .LBB0_31
; %bb.30:                               ;   in Loop: Header=BB0_27 Depth=2
	v_rcp_iflag_f32_e32 v8, v7
	s_sub_i32 s8, 0, s33
	v_mul_f32_e32 v8, 0x4f7ffffe, v8
	v_cvt_u32_f32_e32 v8, v8
	v_mul_lo_u32 v9, s8, v8
	v_mul_hi_u32 v9, v8, v9
	v_add_u32_e32 v8, v8, v9
	v_mul_hi_u32 v8, v0, v8
	v_mul_lo_u32 v9, v8, s33
	v_sub_u32_e32 v9, v0, v9
	v_add_u32_e32 v10, 1, v8
	v_subrev_u32_e32 v11, s33, v9
	v_cmp_le_u32_e32 vcc, s33, v9
	v_cndmask_b32_e32 v9, v9, v11, vcc
	v_cndmask_b32_e32 v8, v8, v10, vcc
	v_add_u32_e32 v10, 1, v8
	v_cmp_le_u32_e32 vcc, s33, v9
	v_cndmask_b32_e32 v8, v8, v10, vcc
	v_mov_b32_e32 v9, v1
.LBB0_31:                               ;   in Loop: Header=BB0_27 Depth=2
	s_or_b64 exec, exec, s[6:7]
	v_mul_lo_u32 v9, v9, s33
	v_mul_lo_u32 v12, v8, s27
	v_mad_u64_u32 v[10:11], s[6:7], v8, s33, 0
	v_add3_u32 v9, v11, v12, v9
	v_sub_co_u32_e32 v10, vcc, v0, v10
	v_subb_co_u32_e32 v9, vcc, 0, v9, vcc
	v_mul_lo_u32 v9, v9, s18
	v_mul_lo_u32 v11, v10, s52
	v_mad_u64_u32 v[12:13], s[6:7], v10, s18, 0
	v_add3_u32 v13, v13, v11, v9
	v_or_b32_e32 v11, s27, v13
	v_mov_b32_e32 v10, v1
	v_cmp_ne_u64_e32 vcc, 0, v[10:11]
                                        ; implicit-def: $vgpr10_vgpr11
	s_and_saveexec_b64 s[6:7], vcc
	s_xor_b64 s[8:9], exec, s[6:7]
	s_cbranch_execz .LBB0_33
; %bb.32:                               ;   in Loop: Header=BB0_27 Depth=2
	s_add_u32 s6, s33, s27
	s_mov_b32 s10, s27
	s_mov_b32 s11, s27
	s_addc_u32 s7, s27, s27
	s_xor_b64 s[36:37], s[6:7], s[10:11]
	v_cvt_f32_u32_e32 v9, s36
	v_cvt_f32_u32_e32 v10, s37
	s_sub_u32 s6, 0, s36
	s_subb_u32 s7, 0, s37
	v_mac_f32_e32 v9, 0x4f800000, v10
	v_rcp_f32_e32 v9, v9
	v_mul_f32_e32 v9, 0x5f7ffffc, v9
	v_mul_f32_e32 v10, 0x2f800000, v9
	v_trunc_f32_e32 v10, v10
	v_mac_f32_e32 v9, 0xcf800000, v10
	v_cvt_u32_f32_e32 v10, v10
	v_cvt_u32_f32_e32 v9, v9
	v_mul_lo_u32 v11, s6, v10
	v_mul_hi_u32 v15, s6, v9
	v_mul_lo_u32 v14, s7, v9
	v_add_u32_e32 v11, v15, v11
	v_mul_lo_u32 v16, s6, v9
	v_add_u32_e32 v11, v11, v14
	v_mul_lo_u32 v15, v9, v11
	v_mul_hi_u32 v17, v9, v16
	v_mul_hi_u32 v14, v9, v11
	v_add_co_u32_e32 v15, vcc, v17, v15
	v_addc_co_u32_e32 v14, vcc, 0, v14, vcc
	v_mul_hi_u32 v18, v10, v16
	v_mul_lo_u32 v16, v10, v16
	v_add_co_u32_e32 v15, vcc, v15, v16
	v_mul_hi_u32 v17, v10, v11
	v_addc_co_u32_e32 v14, vcc, v14, v18, vcc
	v_addc_co_u32_e32 v15, vcc, 0, v17, vcc
	v_mul_lo_u32 v11, v10, v11
	v_add_co_u32_e32 v11, vcc, v14, v11
	v_addc_co_u32_e32 v14, vcc, 0, v15, vcc
	v_add_co_u32_e32 v9, vcc, v9, v11
	v_addc_co_u32_e32 v10, vcc, v10, v14, vcc
	v_mul_lo_u32 v11, s6, v10
	v_mul_hi_u32 v14, s6, v9
	v_add_u32_e32 v11, v14, v11
	v_mul_lo_u32 v14, s7, v9
	v_add_u32_e32 v11, v11, v14
	v_mul_lo_u32 v15, s6, v9
	v_mul_hi_u32 v16, v10, v15
	v_mul_lo_u32 v17, v10, v15
	v_mul_lo_u32 v19, v9, v11
	v_mul_hi_u32 v15, v9, v15
	v_mul_hi_u32 v18, v9, v11
	v_add_co_u32_e32 v15, vcc, v15, v19
	v_addc_co_u32_e32 v18, vcc, 0, v18, vcc
	v_add_co_u32_e32 v15, vcc, v15, v17
	v_mul_hi_u32 v14, v10, v11
	v_addc_co_u32_e32 v15, vcc, v18, v16, vcc
	v_addc_co_u32_e32 v14, vcc, 0, v14, vcc
	v_mul_lo_u32 v11, v10, v11
	v_add_co_u32_e32 v11, vcc, v15, v11
	v_addc_co_u32_e32 v14, vcc, 0, v14, vcc
	v_add_co_u32_e32 v9, vcc, v9, v11
	v_addc_co_u32_e32 v14, vcc, v10, v14, vcc
	v_ashrrev_i32_e32 v15, 31, v13
	v_add_co_u32_e32 v10, vcc, v12, v15
	v_addc_co_u32_e32 v11, vcc, v13, v15, vcc
	v_xor_b32_e32 v17, v10, v15
	v_xor_b32_e32 v16, v11, v15
	v_mad_u64_u32 v[10:11], s[6:7], v17, v14, 0
	v_mul_hi_u32 v12, v17, v9
	v_add_co_u32_e32 v18, vcc, v12, v10
	v_addc_co_u32_e32 v19, vcc, 0, v11, vcc
	v_mad_u64_u32 v[12:13], s[6:7], v16, v9, 0
	v_add_co_u32_e32 v9, vcc, v18, v12
	v_mad_u64_u32 v[10:11], s[6:7], v16, v14, 0
	v_addc_co_u32_e32 v9, vcc, v19, v13, vcc
	v_addc_co_u32_e32 v11, vcc, 0, v11, vcc
	v_add_co_u32_e32 v9, vcc, v9, v10
	v_addc_co_u32_e32 v12, vcc, 0, v11, vcc
	v_mul_lo_u32 v13, s37, v9
	v_mul_lo_u32 v14, s36, v12
	v_mad_u64_u32 v[10:11], s[6:7], s36, v9, 0
	v_add3_u32 v11, v11, v14, v13
	v_sub_u32_e32 v13, v16, v11
	v_mov_b32_e32 v14, s37
	v_sub_co_u32_e32 v10, vcc, v17, v10
	v_subb_co_u32_e64 v13, s[6:7], v13, v14, vcc
	v_subrev_co_u32_e64 v14, s[6:7], s36, v10
	v_subbrev_co_u32_e64 v13, s[6:7], 0, v13, s[6:7]
	v_cmp_le_u32_e64 s[6:7], s37, v13
	v_cndmask_b32_e64 v17, 0, -1, s[6:7]
	v_cmp_le_u32_e64 s[6:7], s36, v14
	v_cndmask_b32_e64 v14, 0, -1, s[6:7]
	v_cmp_eq_u32_e64 s[6:7], s37, v13
	v_cndmask_b32_e64 v13, v17, v14, s[6:7]
	v_add_co_u32_e64 v14, s[6:7], 2, v9
	v_subb_co_u32_e32 v11, vcc, v16, v11, vcc
	v_addc_co_u32_e64 v17, s[6:7], 0, v12, s[6:7]
	v_cmp_le_u32_e32 vcc, s37, v11
	v_add_co_u32_e64 v18, s[6:7], 1, v9
	v_cndmask_b32_e64 v16, 0, -1, vcc
	v_cmp_le_u32_e32 vcc, s36, v10
	v_addc_co_u32_e64 v19, s[6:7], 0, v12, s[6:7]
	v_cndmask_b32_e64 v10, 0, -1, vcc
	v_cmp_eq_u32_e32 vcc, s37, v11
	v_cmp_ne_u32_e64 s[6:7], 0, v13
	v_cndmask_b32_e32 v10, v16, v10, vcc
	v_cndmask_b32_e64 v13, v19, v17, s[6:7]
	v_cmp_ne_u32_e32 vcc, 0, v10
	v_cndmask_b32_e64 v11, v18, v14, s[6:7]
	v_cndmask_b32_e32 v10, v12, v13, vcc
	v_cndmask_b32_e32 v9, v9, v11, vcc
	v_xor_b32_e32 v12, s10, v15
	v_xor_b32_e32 v11, s11, v15
	;; [unrolled: 1-line block ×4, first 2 shown]
	v_sub_co_u32_e32 v10, vcc, v9, v12
	v_subb_co_u32_e32 v11, vcc, v13, v11, vcc
                                        ; implicit-def: $vgpr12_vgpr13
.LBB0_33:                               ;   in Loop: Header=BB0_27 Depth=2
	s_andn2_saveexec_b64 s[6:7], s[8:9]
	s_cbranch_execz .LBB0_35
; %bb.34:                               ;   in Loop: Header=BB0_27 Depth=2
	v_rcp_iflag_f32_e32 v9, v7
	s_sub_i32 s8, 0, s33
	v_mul_f32_e32 v9, 0x4f7ffffe, v9
	v_cvt_u32_f32_e32 v9, v9
	v_mul_lo_u32 v10, s8, v9
	v_mul_hi_u32 v10, v9, v10
	v_add_u32_e32 v9, v9, v10
	v_mul_hi_u32 v9, v12, v9
	v_mul_lo_u32 v10, v9, s33
	v_sub_u32_e32 v10, v12, v10
	v_add_u32_e32 v11, 1, v9
	v_subrev_u32_e32 v12, s33, v10
	v_cmp_le_u32_e32 vcc, s33, v10
	v_cndmask_b32_e32 v10, v10, v12, vcc
	v_cndmask_b32_e32 v9, v9, v11, vcc
	v_add_u32_e32 v11, 1, v9
	v_cmp_le_u32_e32 vcc, s33, v10
	v_cndmask_b32_e32 v10, v9, v11, vcc
	v_mov_b32_e32 v11, v1
.LBB0_35:                               ;   in Loop: Header=BB0_27 Depth=2
	s_or_b64 exec, exec, s[6:7]
	v_add_co_u32_e32 v9, vcc, 1, v0
	v_addc_co_u32_e64 v12, s[6:7], 0, 0, vcc
	v_mul_lo_u32 v14, v9, s52
	v_mul_lo_u32 v15, v12, s18
	v_mad_u64_u32 v[12:13], s[6:7], v9, s18, -1
	v_add3_u32 v13, v15, v13, v14
	v_or_b32_e32 v15, s27, v13
	v_mov_b32_e32 v14, v1
	v_cmp_ne_u64_e32 vcc, 0, v[14:15]
                                        ; implicit-def: $vgpr16_vgpr17
	s_and_saveexec_b64 s[6:7], vcc
	s_xor_b64 s[8:9], exec, s[6:7]
	s_cbranch_execz .LBB0_37
; %bb.36:                               ;   in Loop: Header=BB0_27 Depth=2
	s_add_u32 s6, s33, s27
	s_mov_b32 s10, s27
	s_mov_b32 s11, s27
	s_addc_u32 s7, s27, s27
	s_xor_b64 s[36:37], s[6:7], s[10:11]
	v_cvt_f32_u32_e32 v7, s36
	v_cvt_f32_u32_e32 v9, s37
	s_sub_u32 s6, 0, s36
	s_subb_u32 s7, 0, s37
	v_mac_f32_e32 v7, 0x4f800000, v9
	v_rcp_f32_e32 v7, v7
	v_mul_f32_e32 v7, 0x5f7ffffc, v7
	v_mul_f32_e32 v9, 0x2f800000, v7
	v_trunc_f32_e32 v9, v9
	v_mac_f32_e32 v7, 0xcf800000, v9
	v_cvt_u32_f32_e32 v9, v9
	v_cvt_u32_f32_e32 v7, v7
	v_mul_lo_u32 v14, s6, v9
	v_mul_hi_u32 v16, s6, v7
	v_mul_lo_u32 v15, s7, v7
	v_add_u32_e32 v14, v16, v14
	v_mul_lo_u32 v17, s6, v7
	v_add_u32_e32 v14, v14, v15
	v_mul_lo_u32 v16, v7, v14
	v_mul_hi_u32 v18, v7, v17
	v_mul_hi_u32 v15, v7, v14
	v_add_co_u32_e32 v16, vcc, v18, v16
	v_addc_co_u32_e32 v15, vcc, 0, v15, vcc
	v_mul_hi_u32 v19, v9, v17
	v_mul_lo_u32 v17, v9, v17
	v_add_co_u32_e32 v16, vcc, v16, v17
	v_mul_hi_u32 v18, v9, v14
	v_addc_co_u32_e32 v15, vcc, v15, v19, vcc
	v_addc_co_u32_e32 v16, vcc, 0, v18, vcc
	v_mul_lo_u32 v14, v9, v14
	v_add_co_u32_e32 v14, vcc, v15, v14
	v_addc_co_u32_e32 v15, vcc, 0, v16, vcc
	v_add_co_u32_e32 v7, vcc, v7, v14
	v_addc_co_u32_e32 v9, vcc, v9, v15, vcc
	v_mul_lo_u32 v14, s6, v9
	v_mul_hi_u32 v15, s6, v7
	v_add_u32_e32 v14, v15, v14
	v_mul_lo_u32 v15, s7, v7
	v_add_u32_e32 v14, v14, v15
	v_mul_lo_u32 v16, s6, v7
	v_mul_hi_u32 v17, v9, v16
	v_mul_lo_u32 v18, v9, v16
	v_mul_lo_u32 v28, v7, v14
	v_mul_hi_u32 v16, v7, v16
	v_mul_hi_u32 v19, v7, v14
	v_add_co_u32_e32 v16, vcc, v16, v28
	v_addc_co_u32_e32 v19, vcc, 0, v19, vcc
	v_add_co_u32_e32 v16, vcc, v16, v18
	v_mul_hi_u32 v15, v9, v14
	v_addc_co_u32_e32 v16, vcc, v19, v17, vcc
	v_addc_co_u32_e32 v15, vcc, 0, v15, vcc
	v_mul_lo_u32 v14, v9, v14
	v_add_co_u32_e32 v14, vcc, v16, v14
	v_addc_co_u32_e32 v15, vcc, 0, v15, vcc
	v_add_co_u32_e32 v7, vcc, v7, v14
	v_addc_co_u32_e32 v9, vcc, v9, v15, vcc
	v_ashrrev_i32_e32 v16, 31, v13
	v_add_co_u32_e32 v12, vcc, v12, v16
	v_addc_co_u32_e32 v13, vcc, v13, v16, vcc
	v_xor_b32_e32 v18, v12, v16
	v_xor_b32_e32 v17, v13, v16
	v_mad_u64_u32 v[12:13], s[6:7], v18, v9, 0
	v_mul_hi_u32 v14, v18, v7
	v_add_co_u32_e32 v19, vcc, v14, v12
	v_addc_co_u32_e32 v28, vcc, 0, v13, vcc
	v_mad_u64_u32 v[14:15], s[6:7], v17, v7, 0
	v_add_co_u32_e32 v7, vcc, v19, v14
	v_mad_u64_u32 v[12:13], s[6:7], v17, v9, 0
	v_addc_co_u32_e32 v7, vcc, v28, v15, vcc
	v_addc_co_u32_e32 v9, vcc, 0, v13, vcc
	v_add_co_u32_e32 v7, vcc, v7, v12
	v_addc_co_u32_e32 v9, vcc, 0, v9, vcc
	v_mul_lo_u32 v14, s37, v7
	v_mul_lo_u32 v9, s36, v9
	v_mad_u64_u32 v[12:13], s[6:7], s36, v7, 0
	v_add3_u32 v9, v13, v9, v14
	v_sub_u32_e32 v13, v17, v9
	v_mov_b32_e32 v14, s37
	v_sub_co_u32_e32 v12, vcc, v18, v12
	v_subb_co_u32_e64 v13, s[6:7], v13, v14, vcc
	v_subrev_co_u32_e64 v14, s[6:7], s36, v12
	v_subbrev_co_u32_e64 v13, s[6:7], 0, v13, s[6:7]
	v_cmp_le_u32_e64 s[6:7], s37, v13
	v_subb_co_u32_e32 v9, vcc, v17, v9, vcc
	v_cndmask_b32_e64 v15, 0, -1, s[6:7]
	v_cmp_le_u32_e64 s[6:7], s36, v14
	v_cmp_le_u32_e32 vcc, s37, v9
	v_cndmask_b32_e64 v14, 0, -1, s[6:7]
	v_cmp_eq_u32_e64 s[6:7], s37, v13
	v_cndmask_b32_e64 v17, 0, -1, vcc
	v_cmp_le_u32_e32 vcc, s36, v12
	v_cndmask_b32_e64 v13, v15, v14, s[6:7]
	v_cndmask_b32_e64 v12, 0, -1, vcc
	v_cmp_eq_u32_e32 vcc, s37, v9
	v_add_co_u32_e64 v14, s[6:7], 2, v7
	v_add_co_u32_e64 v15, s[6:7], 1, v7
	v_cndmask_b32_e32 v9, v17, v12, vcc
	v_cmp_ne_u32_e32 vcc, 0, v13
	v_cndmask_b32_e32 v12, v15, v14, vcc
	v_cmp_ne_u32_e32 vcc, 0, v9
	v_cndmask_b32_e32 v7, v7, v12, vcc
	v_xor_b32_e32 v9, s10, v16
	v_xor_b32_e32 v7, v7, v9
	v_sub_co_u32_e32 v16, vcc, v7, v9
                                        ; implicit-def: $vgpr7
                                        ; implicit-def: $vgpr12_vgpr13
.LBB0_37:                               ;   in Loop: Header=BB0_27 Depth=2
	s_andn2_saveexec_b64 s[6:7], s[8:9]
	s_cbranch_execz .LBB0_39
; %bb.38:                               ;   in Loop: Header=BB0_27 Depth=2
	v_rcp_iflag_f32_e32 v7, v7
	s_sub_i32 s8, 0, s33
	v_mul_f32_e32 v7, 0x4f7ffffe, v7
	v_cvt_u32_f32_e32 v7, v7
	v_mul_lo_u32 v9, s8, v7
	v_mul_hi_u32 v9, v7, v9
	v_add_u32_e32 v7, v7, v9
	v_mul_hi_u32 v7, v12, v7
	v_mul_lo_u32 v9, v7, s33
	v_sub_u32_e32 v9, v12, v9
	v_add_u32_e32 v13, 1, v7
	v_subrev_u32_e32 v12, s33, v9
	v_cmp_le_u32_e32 vcc, s33, v9
	v_cndmask_b32_e32 v9, v9, v12, vcc
	v_cndmask_b32_e32 v7, v7, v13, vcc
	v_add_u32_e32 v12, 1, v7
	v_cmp_le_u32_e32 vcc, s33, v9
	v_cndmask_b32_e32 v16, v7, v12, vcc
.LBB0_39:                               ;   in Loop: Header=BB0_27 Depth=2
	s_or_b64 exec, exec, s[6:7]
	v_mad_u64_u32 v[18:19], s[6:7], v8, s18, v[10:11]
	v_add_u32_e32 v12, v27, v18
	v_mov_b32_e32 v14, 0
	v_ashrrev_i32_e32 v13, 31, v12
	s_andn2_b64 vcc, exec, s[2:3]
	v_mov_b32_e32 v15, 0xfff00000
	s_cbranch_vccnz .LBB0_26
; %bb.40:                               ;   in Loop: Header=BB0_27 Depth=2
	v_sub_u32_e32 v7, v16, v18
	v_ashrrev_i32_e32 v9, 31, v18
	v_add_u32_e32 v7, 1, v7
	v_mad_u64_u32 v[16:17], s[8:9], s14, v18, v[4:5]
	v_mul_lo_u32 v11, s15, v18
	v_mul_lo_u32 v9, s14, v9
	v_add_u32_e32 v8, v6, v8
	v_mov_b32_e32 v14, 0
	s_mov_b32 s55, 0
	v_cmp_lt_i32_e64 s[6:7], 0, v7
	v_add3_u32 v17, v11, v17, v9
	v_mad_u64_u32 v[8:9], s[8:9], s18, v8, v[10:11]
	v_mov_b32_e32 v15, 0xfff00000
	s_branch .LBB0_43
.LBB0_41:                               ;   in Loop: Header=BB0_43 Depth=3
	s_or_b64 exec, exec, s[38:39]
.LBB0_42:                               ;   in Loop: Header=BB0_43 Depth=3
	s_or_b64 exec, exec, s[36:37]
	v_mov_b32_e32 v9, s23
	v_add_co_u32_e32 v16, vcc, s22, v16
	s_add_i32 s55, s55, 1
	v_addc_co_u32_e32 v17, vcc, v17, v9, vcc
	v_cmp_ne_u32_e32 vcc, s55, v21
	v_add_u32_e32 v8, s54, v8
	s_cbranch_vccz .LBB0_26
.LBB0_43:                               ;   Parent Loop BB0_12 Depth=1
                                        ;     Parent Loop BB0_27 Depth=2
                                        ; =>    This Loop Header: Depth=3
                                        ;         Child Loop BB0_46 Depth 4
                                        ;           Child Loop BB0_48 Depth 5
	s_and_saveexec_b64 s[36:37], s[4:5]
	s_cbranch_execz .LBB0_42
; %bb.44:                               ;   in Loop: Header=BB0_43 Depth=3
	s_mov_b32 s56, 0
	s_mov_b64 s[38:39], 0
	v_mov_b32_e32 v9, v8
	v_pk_mov_b32 v[10:11], v[16:17], v[16:17] op_sel:[0,1]
	s_branch .LBB0_46
.LBB0_45:                               ;   in Loop: Header=BB0_46 Depth=4
	s_or_b64 exec, exec, s[40:41]
	v_mov_b32_e32 v18, s13
	v_add_co_u32_e32 v10, vcc, s12, v10
	s_add_i32 s56, s56, 1
	v_addc_co_u32_e32 v11, vcc, v11, v18, vcc
	v_cmp_ge_i32_e32 vcc, s56, v3
	s_or_b64 s[38:39], vcc, s[38:39]
	v_add_u32_e32 v9, s18, v9
	s_andn2_b64 exec, exec, s[38:39]
	s_cbranch_execz .LBB0_41
.LBB0_46:                               ;   Parent Loop BB0_12 Depth=1
                                        ;     Parent Loop BB0_27 Depth=2
                                        ;       Parent Loop BB0_43 Depth=3
                                        ; =>      This Loop Header: Depth=4
                                        ;           Child Loop BB0_48 Depth 5
	s_and_saveexec_b64 s[40:41], s[6:7]
	s_cbranch_execz .LBB0_45
; %bb.47:                               ;   in Loop: Header=BB0_46 Depth=4
	s_mov_b32 s57, 0
	s_mov_b64 s[42:43], 0
	v_pk_mov_b32 v[18:19], v[10:11], v[10:11] op_sel:[0,1]
.LBB0_48:                               ;   Parent Loop BB0_12 Depth=1
                                        ;     Parent Loop BB0_27 Depth=2
                                        ;       Parent Loop BB0_43 Depth=3
                                        ;         Parent Loop BB0_46 Depth=4
                                        ; =>        This Inner Loop Header: Depth=5
	global_load_dwordx2 v[28:29], v[18:19], off
	v_mov_b32_e32 v31, s15
	v_add_co_u32_e32 v18, vcc, s14, v18
	v_add_u32_e32 v30, s57, v9
	s_add_i32 s57, s57, 1
	v_addc_co_u32_e32 v19, vcc, v19, v31, vcc
	v_ashrrev_i32_e32 v32, 31, v30
	v_cmp_ge_i32_e32 vcc, s57, v7
	s_waitcnt vmcnt(0)
	v_cmp_gt_f64_e64 s[8:9], v[28:29], v[14:15]
	v_cmp_u_f64_e64 s[10:11], v[28:29], v[28:29]
	s_or_b64 s[8:9], s[8:9], s[10:11]
	v_cndmask_b32_e64 v13, v13, v32, s[8:9]
	v_cndmask_b32_e64 v12, v12, v30, s[8:9]
	;; [unrolled: 1-line block ×3, first 2 shown]
	s_or_b64 s[42:43], vcc, s[42:43]
	v_cndmask_b32_e64 v14, v14, v28, s[8:9]
	s_andn2_b64 exec, exec, s[42:43]
	s_cbranch_execnz .LBB0_48
; %bb.49:                               ;   in Loop: Header=BB0_46 Depth=4
	s_or_b64 exec, exec, s[42:43]
	s_branch .LBB0_45
.LBB0_50:
	s_endpgm
.LBB0_51:
                                        ; implicit-def: $sgpr28_sgpr29
	s_branch .LBB0_2
.LBB0_52:
                                        ; implicit-def: $sgpr26_sgpr27
	s_load_dword s36, s[4:5], 0x64
	s_branch .LBB0_5
.LBB0_53:
                                        ; implicit-def: $vgpr4_vgpr5
	s_load_dword s48, s[4:5], 0x5c
	s_andn2_b64 vcc, exec, s[22:23]
	s_cbranch_vccz .LBB0_9
	s_branch .LBB0_10
	.section	.rodata,"a",@progbits
	.p2align	6, 0x0
	.amdhsa_kernel _ZN2at6native12_GLOBAL__N_115adaptivemaxpoolIdEEvPKT_PS3_Pliiiiiilllll
		.amdhsa_group_segment_fixed_size 0
		.amdhsa_private_segment_fixed_size 0
		.amdhsa_kernarg_size 344
		.amdhsa_user_sgpr_count 6
		.amdhsa_user_sgpr_private_segment_buffer 1
		.amdhsa_user_sgpr_dispatch_ptr 0
		.amdhsa_user_sgpr_queue_ptr 0
		.amdhsa_user_sgpr_kernarg_segment_ptr 1
		.amdhsa_user_sgpr_dispatch_id 0
		.amdhsa_user_sgpr_flat_scratch_init 0
		.amdhsa_user_sgpr_kernarg_preload_length 0
		.amdhsa_user_sgpr_kernarg_preload_offset 0
		.amdhsa_user_sgpr_private_segment_size 0
		.amdhsa_uses_dynamic_stack 0
		.amdhsa_system_sgpr_private_segment_wavefront_offset 0
		.amdhsa_system_sgpr_workgroup_id_x 1
		.amdhsa_system_sgpr_workgroup_id_y 1
		.amdhsa_system_sgpr_workgroup_id_z 0
		.amdhsa_system_sgpr_workgroup_info 0
		.amdhsa_system_vgpr_workitem_id 1
		.amdhsa_next_free_vgpr 33
		.amdhsa_next_free_sgpr 58
		.amdhsa_accum_offset 36
		.amdhsa_reserve_vcc 1
		.amdhsa_reserve_flat_scratch 0
		.amdhsa_float_round_mode_32 0
		.amdhsa_float_round_mode_16_64 0
		.amdhsa_float_denorm_mode_32 3
		.amdhsa_float_denorm_mode_16_64 3
		.amdhsa_dx10_clamp 1
		.amdhsa_ieee_mode 1
		.amdhsa_fp16_overflow 0
		.amdhsa_tg_split 0
		.amdhsa_exception_fp_ieee_invalid_op 0
		.amdhsa_exception_fp_denorm_src 0
		.amdhsa_exception_fp_ieee_div_zero 0
		.amdhsa_exception_fp_ieee_overflow 0
		.amdhsa_exception_fp_ieee_underflow 0
		.amdhsa_exception_fp_ieee_inexact 0
		.amdhsa_exception_int_div_zero 0
	.end_amdhsa_kernel
	.section	.text._ZN2at6native12_GLOBAL__N_115adaptivemaxpoolIdEEvPKT_PS3_Pliiiiiilllll,"axG",@progbits,_ZN2at6native12_GLOBAL__N_115adaptivemaxpoolIdEEvPKT_PS3_Pliiiiiilllll,comdat
.Lfunc_end0:
	.size	_ZN2at6native12_GLOBAL__N_115adaptivemaxpoolIdEEvPKT_PS3_Pliiiiiilllll, .Lfunc_end0-_ZN2at6native12_GLOBAL__N_115adaptivemaxpoolIdEEvPKT_PS3_Pliiiiiilllll
                                        ; -- End function
	.section	.AMDGPU.csdata,"",@progbits
; Kernel info:
; codeLenInByte = 7540
; NumSgprs: 62
; NumVgprs: 33
; NumAgprs: 0
; TotalNumVgprs: 33
; ScratchSize: 0
; MemoryBound: 0
; FloatMode: 240
; IeeeMode: 1
; LDSByteSize: 0 bytes/workgroup (compile time only)
; SGPRBlocks: 7
; VGPRBlocks: 4
; NumSGPRsForWavesPerEU: 62
; NumVGPRsForWavesPerEU: 33
; AccumOffset: 36
; Occupancy: 8
; WaveLimiterHint : 0
; COMPUTE_PGM_RSRC2:SCRATCH_EN: 0
; COMPUTE_PGM_RSRC2:USER_SGPR: 6
; COMPUTE_PGM_RSRC2:TRAP_HANDLER: 0
; COMPUTE_PGM_RSRC2:TGID_X_EN: 1
; COMPUTE_PGM_RSRC2:TGID_Y_EN: 1
; COMPUTE_PGM_RSRC2:TGID_Z_EN: 0
; COMPUTE_PGM_RSRC2:TIDIG_COMP_CNT: 1
; COMPUTE_PGM_RSRC3_GFX90A:ACCUM_OFFSET: 8
; COMPUTE_PGM_RSRC3_GFX90A:TG_SPLIT: 0
	.section	.text._ZN2at6native12_GLOBAL__N_115adaptivemaxpoolIfEEvPKT_PS3_Pliiiiiilllll,"axG",@progbits,_ZN2at6native12_GLOBAL__N_115adaptivemaxpoolIfEEvPKT_PS3_Pliiiiiilllll,comdat
	.globl	_ZN2at6native12_GLOBAL__N_115adaptivemaxpoolIfEEvPKT_PS3_Pliiiiiilllll ; -- Begin function _ZN2at6native12_GLOBAL__N_115adaptivemaxpoolIfEEvPKT_PS3_Pliiiiiilllll
	.p2align	8
	.type	_ZN2at6native12_GLOBAL__N_115adaptivemaxpoolIfEEvPKT_PS3_Pliiiiiilllll,@function
_ZN2at6native12_GLOBAL__N_115adaptivemaxpoolIfEEvPKT_PS3_Pliiiiiilllll: ; @_ZN2at6native12_GLOBAL__N_115adaptivemaxpoolIfEEvPKT_PS3_Pliiiiiilllll
; %bb.0:
	s_load_dwordx2 s[0:1], s[4:5], 0x50
	s_load_dwordx4 s[16:19], s[4:5], 0x18
	s_load_dwordx2 s[24:25], s[4:5], 0x28
	s_mov_b32 s8, 0
	s_waitcnt lgkmcnt(0)
	s_add_u32 s2, s6, s0
	s_addc_u32 s3, 0, s1
	s_ashr_i32 s21, s19, 31
	s_mov_b32 s20, s19
	s_or_b64 s[0:1], s[2:3], s[20:21]
	s_mov_b32 s9, s1
	s_cmp_lg_u64 s[8:9], 0
	s_cbranch_scc0 .LBB1_51
; %bb.1:
	s_add_u32 s0, s20, s21
	s_mov_b32 s10, s21
	s_mov_b32 s11, s21
	s_addc_u32 s1, s21, s21
	s_xor_b64 s[12:13], s[0:1], s[10:11]
	v_cvt_f32_u32_e32 v1, s12
	v_cvt_f32_u32_e32 v2, s13
	s_sub_u32 s0, 0, s12
	s_subb_u32 s1, 0, s13
	v_madmk_f32 v1, v2, 0x4f800000, v1
	v_rcp_f32_e32 v1, v1
	v_mul_f32_e32 v1, 0x5f7ffffc, v1
	v_mul_f32_e32 v2, 0x2f800000, v1
	v_trunc_f32_e32 v2, v2
	v_madmk_f32 v1, v2, 0xcf800000, v1
	v_cvt_u32_f32_e32 v2, v2
	v_cvt_u32_f32_e32 v1, v1
	v_readfirstlane_b32 s6, v2
	v_readfirstlane_b32 s14, v1
	s_mul_i32 s15, s0, s6
	s_mul_hi_u32 s22, s0, s14
	s_mul_i32 s19, s1, s14
	s_add_i32 s15, s22, s15
	s_add_i32 s15, s15, s19
	s_mul_i32 s23, s0, s14
	s_mul_hi_u32 s19, s14, s15
	s_mul_i32 s22, s14, s15
	s_mul_hi_u32 s14, s14, s23
	s_add_u32 s14, s14, s22
	s_addc_u32 s19, 0, s19
	s_mul_hi_u32 s26, s6, s23
	s_mul_i32 s23, s6, s23
	s_add_u32 s14, s14, s23
	s_mul_hi_u32 s22, s6, s15
	s_addc_u32 s14, s19, s26
	s_addc_u32 s19, s22, 0
	s_mul_i32 s15, s6, s15
	s_add_u32 s14, s14, s15
	s_addc_u32 s15, 0, s19
	v_add_co_u32_e32 v1, vcc, s14, v1
	s_cmp_lg_u64 vcc, 0
	s_addc_u32 s6, s6, s15
	v_readfirstlane_b32 s15, v1
	s_mul_i32 s14, s0, s6
	s_mul_hi_u32 s19, s0, s15
	s_add_i32 s14, s19, s14
	s_mul_i32 s1, s1, s15
	s_add_i32 s14, s14, s1
	s_mul_i32 s0, s0, s15
	s_mul_hi_u32 s19, s6, s0
	s_mul_i32 s22, s6, s0
	s_mul_i32 s26, s15, s14
	s_mul_hi_u32 s0, s15, s0
	s_mul_hi_u32 s23, s15, s14
	s_add_u32 s0, s0, s26
	s_addc_u32 s15, 0, s23
	s_add_u32 s0, s0, s22
	s_mul_hi_u32 s1, s6, s14
	s_addc_u32 s0, s15, s19
	s_addc_u32 s1, s1, 0
	s_mul_i32 s14, s6, s14
	s_add_u32 s0, s0, s14
	s_addc_u32 s1, 0, s1
	v_add_co_u32_e32 v1, vcc, s0, v1
	s_cmp_lg_u64 vcc, 0
	s_addc_u32 s6, s6, s1
	s_ashr_i32 s14, s3, 31
	s_add_u32 s0, s2, s14
	s_mov_b32 s15, s14
	s_addc_u32 s1, s3, s14
	s_xor_b64 s[22:23], s[0:1], s[14:15]
	v_readfirstlane_b32 s19, v1
	s_mul_i32 s1, s22, s6
	s_mul_hi_u32 s26, s22, s19
	s_mul_hi_u32 s0, s22, s6
	s_add_u32 s1, s26, s1
	s_addc_u32 s0, 0, s0
	s_mul_hi_u32 s27, s23, s19
	s_mul_i32 s19, s23, s19
	s_add_u32 s1, s1, s19
	s_mul_hi_u32 s26, s23, s6
	s_addc_u32 s0, s0, s27
	s_addc_u32 s1, s26, 0
	s_mul_i32 s6, s23, s6
	s_add_u32 s6, s0, s6
	s_addc_u32 s19, 0, s1
	s_mul_i32 s0, s12, s19
	s_mul_hi_u32 s1, s12, s6
	s_add_i32 s0, s1, s0
	s_mul_i32 s1, s13, s6
	s_add_i32 s26, s0, s1
	s_mul_i32 s1, s12, s6
	v_mov_b32_e32 v1, s1
	s_sub_i32 s0, s23, s26
	v_sub_co_u32_e32 v1, vcc, s22, v1
	s_cmp_lg_u64 vcc, 0
	s_subb_u32 s22, s0, s13
	v_subrev_co_u32_e64 v2, s[0:1], s12, v1
	s_cmp_lg_u64 s[0:1], 0
	s_subb_u32 s0, s22, 0
	s_cmp_ge_u32 s0, s13
	v_readfirstlane_b32 s22, v2
	s_cselect_b32 s1, -1, 0
	s_cmp_ge_u32 s22, s12
	s_cselect_b32 s22, -1, 0
	s_cmp_eq_u32 s0, s13
	s_cselect_b32 s0, s22, s1
	s_add_u32 s1, s6, 1
	s_addc_u32 s22, s19, 0
	s_add_u32 s27, s6, 2
	s_addc_u32 s28, s19, 0
	s_cmp_lg_u32 s0, 0
	s_cselect_b32 s0, s27, s1
	s_cselect_b32 s1, s28, s22
	s_cmp_lg_u64 vcc, 0
	s_subb_u32 s22, s23, s26
	s_cmp_ge_u32 s22, s13
	v_readfirstlane_b32 s26, v1
	s_cselect_b32 s23, -1, 0
	s_cmp_ge_u32 s26, s12
	s_cselect_b32 s12, -1, 0
	s_cmp_eq_u32 s22, s13
	s_cselect_b32 s12, s12, s23
	s_cmp_lg_u32 s12, 0
	s_cselect_b32 s1, s1, s19
	s_cselect_b32 s0, s0, s6
	s_xor_b64 s[10:11], s[14:15], s[10:11]
	s_xor_b64 s[0:1], s[0:1], s[10:11]
	s_sub_u32 s28, s0, s10
	s_subb_u32 s29, s1, s11
	s_cbranch_execnz .LBB1_3
.LBB1_2:
	v_cvt_f32_u32_e32 v1, s20
	s_sub_i32 s0, 0, s20
	s_mov_b32 s29, 0
	v_rcp_iflag_f32_e32 v1, v1
	v_mul_f32_e32 v1, 0x4f7ffffe, v1
	v_cvt_u32_f32_e32 v1, v1
	v_readfirstlane_b32 s1, v1
	s_mul_i32 s0, s0, s1
	s_mul_hi_u32 s0, s1, s0
	s_add_i32 s1, s1, s0
	s_mul_hi_u32 s0, s2, s1
	s_mul_i32 s6, s0, s20
	s_sub_i32 s6, s2, s6
	s_add_i32 s1, s0, 1
	s_sub_i32 s8, s6, s20
	s_cmp_ge_u32 s6, s20
	s_cselect_b32 s0, s1, s0
	s_cselect_b32 s6, s8, s6
	s_add_i32 s1, s0, 1
	s_cmp_ge_u32 s6, s20
	s_cselect_b32 s28, s1, s0
.LBB1_3:
	s_mul_i32 s0, s28, s21
	s_mul_hi_u32 s1, s28, s20
	s_add_i32 s0, s1, s0
	s_mul_i32 s1, s29, s20
	s_add_i32 s0, s0, s1
	s_mul_i32 s1, s28, s20
	s_sub_u32 s1, s2, s1
	s_subb_u32 s0, s3, s0
	s_ashr_i32 s6, s16, 31
	s_mul_i32 s8, s1, s6
	s_mul_hi_u32 s9, s1, s16
	s_add_i32 s8, s9, s8
	s_mul_i32 s0, s0, s16
	s_add_i32 s23, s8, s0
	s_mul_i32 s22, s1, s16
	s_or_b64 s[0:1], s[22:23], s[20:21]
	s_mov_b32 s0, 0
	s_cmp_lg_u64 s[0:1], 0
	s_cbranch_scc0 .LBB1_52
; %bb.4:
	s_add_u32 s0, s20, s21
	s_mov_b32 s10, s21
	s_mov_b32 s11, s21
	s_addc_u32 s1, s21, s21
	s_xor_b64 s[12:13], s[0:1], s[10:11]
	v_cvt_f32_u32_e32 v1, s12
	v_cvt_f32_u32_e32 v2, s13
	s_sub_u32 s0, 0, s12
	s_subb_u32 s1, 0, s13
	v_madmk_f32 v1, v2, 0x4f800000, v1
	v_rcp_f32_e32 v1, v1
	v_mul_f32_e32 v1, 0x5f7ffffc, v1
	v_mul_f32_e32 v2, 0x2f800000, v1
	v_trunc_f32_e32 v2, v2
	v_madmk_f32 v1, v2, 0xcf800000, v1
	v_cvt_u32_f32_e32 v2, v2
	v_cvt_u32_f32_e32 v1, v1
	v_readfirstlane_b32 s14, v2
	v_readfirstlane_b32 s15, v1
	s_mul_i32 s19, s0, s14
	s_mul_hi_u32 s27, s0, s15
	s_mul_i32 s26, s1, s15
	s_add_i32 s19, s27, s19
	s_add_i32 s19, s19, s26
	s_mul_i32 s30, s0, s15
	s_mul_hi_u32 s26, s15, s19
	s_mul_i32 s27, s15, s19
	s_mul_hi_u32 s15, s15, s30
	s_add_u32 s15, s15, s27
	s_addc_u32 s26, 0, s26
	s_mul_hi_u32 s31, s14, s30
	s_mul_i32 s30, s14, s30
	s_add_u32 s15, s15, s30
	s_mul_hi_u32 s27, s14, s19
	s_addc_u32 s15, s26, s31
	s_addc_u32 s26, s27, 0
	s_mul_i32 s19, s14, s19
	s_add_u32 s15, s15, s19
	s_addc_u32 s19, 0, s26
	v_add_co_u32_e32 v1, vcc, s15, v1
	s_cmp_lg_u64 vcc, 0
	s_addc_u32 s14, s14, s19
	v_readfirstlane_b32 s19, v1
	s_mul_i32 s15, s0, s14
	s_mul_hi_u32 s26, s0, s19
	s_add_i32 s15, s26, s15
	s_mul_i32 s1, s1, s19
	s_add_i32 s15, s15, s1
	s_mul_i32 s0, s0, s19
	s_mul_hi_u32 s26, s14, s0
	s_mul_i32 s27, s14, s0
	s_mul_i32 s31, s19, s15
	s_mul_hi_u32 s0, s19, s0
	s_mul_hi_u32 s30, s19, s15
	s_add_u32 s0, s0, s31
	s_addc_u32 s19, 0, s30
	s_add_u32 s0, s0, s27
	s_mul_hi_u32 s1, s14, s15
	s_addc_u32 s0, s19, s26
	s_addc_u32 s1, s1, 0
	s_mul_i32 s15, s14, s15
	s_add_u32 s0, s0, s15
	s_addc_u32 s1, 0, s1
	v_add_co_u32_e32 v1, vcc, s0, v1
	s_cmp_lg_u64 vcc, 0
	s_addc_u32 s19, s14, s1
	s_ashr_i32 s14, s23, 31
	s_add_u32 s0, s22, s14
	s_mov_b32 s15, s14
	s_addc_u32 s1, s23, s14
	s_xor_b64 s[26:27], s[0:1], s[14:15]
	v_readfirstlane_b32 s30, v1
	s_mul_i32 s1, s26, s19
	s_mul_hi_u32 s31, s26, s30
	s_mul_hi_u32 s0, s26, s19
	s_add_u32 s1, s31, s1
	s_addc_u32 s0, 0, s0
	s_mul_hi_u32 s33, s27, s30
	s_mul_i32 s30, s27, s30
	s_add_u32 s1, s1, s30
	s_mul_hi_u32 s31, s27, s19
	s_addc_u32 s0, s0, s33
	s_addc_u32 s1, s31, 0
	s_mul_i32 s19, s27, s19
	s_add_u32 s19, s0, s19
	s_addc_u32 s30, 0, s1
	s_mul_i32 s0, s12, s30
	s_mul_hi_u32 s1, s12, s19
	s_add_i32 s0, s1, s0
	s_mul_i32 s1, s13, s19
	s_add_i32 s31, s0, s1
	s_mul_i32 s1, s12, s19
	v_mov_b32_e32 v1, s1
	s_sub_i32 s0, s27, s31
	v_sub_co_u32_e32 v1, vcc, s26, v1
	s_cmp_lg_u64 vcc, 0
	s_subb_u32 s26, s0, s13
	v_subrev_co_u32_e64 v2, s[0:1], s12, v1
	s_cmp_lg_u64 s[0:1], 0
	s_subb_u32 s0, s26, 0
	s_cmp_ge_u32 s0, s13
	v_readfirstlane_b32 s26, v2
	s_cselect_b32 s1, -1, 0
	s_cmp_ge_u32 s26, s12
	s_cselect_b32 s26, -1, 0
	s_cmp_eq_u32 s0, s13
	s_cselect_b32 s0, s26, s1
	s_add_u32 s1, s19, 1
	s_addc_u32 s26, s30, 0
	s_add_u32 s33, s19, 2
	s_addc_u32 s34, s30, 0
	s_cmp_lg_u32 s0, 0
	s_cselect_b32 s0, s33, s1
	s_cselect_b32 s1, s34, s26
	s_cmp_lg_u64 vcc, 0
	s_subb_u32 s26, s27, s31
	s_cmp_ge_u32 s26, s13
	v_readfirstlane_b32 s31, v1
	s_cselect_b32 s27, -1, 0
	s_cmp_ge_u32 s31, s12
	s_cselect_b32 s12, -1, 0
	s_cmp_eq_u32 s26, s13
	s_cselect_b32 s12, s12, s27
	s_cmp_lg_u32 s12, 0
	s_cselect_b32 s1, s1, s30
	s_cselect_b32 s0, s0, s19
	s_xor_b64 s[10:11], s[14:15], s[10:11]
	s_xor_b64 s[0:1], s[0:1], s[10:11]
	s_sub_u32 s26, s0, s10
	s_subb_u32 s27, s1, s11
	s_load_dword s36, s[4:5], 0x64
	s_cbranch_execnz .LBB1_6
.LBB1_5:
	v_cvt_f32_u32_e32 v1, s20
	s_sub_i32 s0, 0, s20
	s_mov_b32 s27, 0
	v_rcp_iflag_f32_e32 v1, v1
	v_mul_f32_e32 v1, 0x4f7ffffe, v1
	v_cvt_u32_f32_e32 v1, v1
	v_readfirstlane_b32 s1, v1
	s_mul_i32 s0, s0, s1
	s_mul_hi_u32 s0, s1, s0
	s_add_i32 s1, s1, s0
	s_mul_hi_u32 s0, s22, s1
	s_mul_i32 s8, s0, s20
	s_sub_i32 s8, s22, s8
	s_add_i32 s1, s0, 1
	s_sub_i32 s9, s8, s20
	s_cmp_ge_u32 s8, s20
	s_cselect_b32 s0, s1, s0
	s_cselect_b32 s8, s9, s8
	s_add_i32 s1, s0, 1
	s_cmp_ge_u32 s8, s20
	s_cselect_b32 s26, s1, s0
.LBB1_6:
	s_waitcnt lgkmcnt(0)
	s_lshr_b32 s37, s36, 16
	s_mul_i32 s7, s7, s37
	v_bfe_u32 v1, v0, 10, 10
	v_add_u32_e32 v2, s7, v1
	v_cmp_gt_i32_e32 vcc, s24, v2
	s_and_saveexec_b64 s[0:1], vcc
	s_cbranch_execz .LBB1_50
; %bb.7:
	s_add_u32 s0, s22, s16
	s_addc_u32 s1, s23, s6
	s_load_dwordx8 s[8:15], s[4:5], 0x30
	s_add_u32 s6, s0, -1
	s_addc_u32 s7, s1, -1
	s_or_b64 s[0:1], s[6:7], s[20:21]
	s_mov_b32 s0, 0
	s_cmp_lg_u64 s[0:1], 0
	s_mov_b64 s[22:23], -1
	s_cbranch_scc0 .LBB1_53
; %bb.8:
	s_add_u32 s0, s20, s21
	s_mov_b32 s30, s21
	s_mov_b32 s31, s21
	s_addc_u32 s1, s21, s21
	s_xor_b64 s[34:35], s[0:1], s[30:31]
	v_cvt_f32_u32_e32 v1, s34
	v_cvt_f32_u32_e32 v3, s35
	s_sub_u32 s0, 0, s34
	s_subb_u32 s1, 0, s35
	v_madmk_f32 v1, v3, 0x4f800000, v1
	v_rcp_f32_e32 v1, v1
	v_mul_f32_e32 v1, 0x5f7ffffc, v1
	v_mul_f32_e32 v3, 0x2f800000, v1
	v_trunc_f32_e32 v3, v3
	v_madmk_f32 v1, v3, 0xcf800000, v1
	v_cvt_u32_f32_e32 v3, v3
	v_cvt_u32_f32_e32 v1, v1
	v_readfirstlane_b32 s16, v3
	v_readfirstlane_b32 s19, v1
	s_mul_i32 s21, s0, s16
	s_mul_hi_u32 s38, s0, s19
	s_mul_i32 s33, s1, s19
	s_add_i32 s21, s38, s21
	s_add_i32 s21, s21, s33
	s_mul_i32 s39, s0, s19
	s_mul_hi_u32 s33, s19, s21
	s_mul_i32 s38, s19, s21
	s_mul_hi_u32 s19, s19, s39
	s_add_u32 s19, s19, s38
	s_addc_u32 s33, 0, s33
	s_mul_hi_u32 s40, s16, s39
	s_mul_i32 s39, s16, s39
	s_add_u32 s19, s19, s39
	s_mul_hi_u32 s38, s16, s21
	s_addc_u32 s19, s33, s40
	s_addc_u32 s33, s38, 0
	s_mul_i32 s21, s16, s21
	s_add_u32 s19, s19, s21
	s_addc_u32 s21, 0, s33
	v_add_co_u32_e32 v1, vcc, s19, v1
	s_cmp_lg_u64 vcc, 0
	s_addc_u32 s16, s16, s21
	v_readfirstlane_b32 s21, v1
	s_mul_i32 s19, s0, s16
	s_mul_hi_u32 s33, s0, s21
	s_add_i32 s19, s33, s19
	s_mul_i32 s1, s1, s21
	s_add_i32 s19, s19, s1
	s_mul_i32 s0, s0, s21
	s_mul_hi_u32 s33, s16, s0
	s_mul_i32 s38, s16, s0
	s_mul_i32 s40, s21, s19
	s_mul_hi_u32 s0, s21, s0
	s_mul_hi_u32 s39, s21, s19
	s_add_u32 s0, s0, s40
	s_addc_u32 s21, 0, s39
	s_add_u32 s0, s0, s38
	s_mul_hi_u32 s1, s16, s19
	s_addc_u32 s0, s21, s33
	s_addc_u32 s1, s1, 0
	s_mul_i32 s19, s16, s19
	s_add_u32 s0, s0, s19
	s_addc_u32 s1, 0, s1
	v_add_co_u32_e32 v1, vcc, s0, v1
	s_cmp_lg_u64 vcc, 0
	s_addc_u32 s16, s16, s1
	s_ashr_i32 s38, s7, 31
	s_add_u32 s0, s6, s38
	s_mov_b32 s39, s38
	s_addc_u32 s1, s7, s38
	s_xor_b64 s[40:41], s[0:1], s[38:39]
	v_readfirstlane_b32 s7, v1
	s_mul_i32 s1, s40, s16
	s_mul_hi_u32 s19, s40, s7
	s_mul_hi_u32 s0, s40, s16
	s_add_u32 s1, s19, s1
	s_addc_u32 s0, 0, s0
	s_mul_hi_u32 s21, s41, s7
	s_mul_i32 s7, s41, s7
	s_add_u32 s1, s1, s7
	s_mul_hi_u32 s19, s41, s16
	s_addc_u32 s0, s0, s21
	s_addc_u32 s1, s19, 0
	s_mul_i32 s7, s41, s16
	s_add_u32 s7, s0, s7
	s_addc_u32 s0, 0, s1
	s_mul_i32 s0, s34, s0
	s_mul_hi_u32 s1, s34, s7
	s_add_i32 s0, s1, s0
	s_mul_i32 s1, s35, s7
	s_add_i32 s16, s0, s1
	s_mul_i32 s1, s34, s7
	v_mov_b32_e32 v1, s1
	s_sub_i32 s0, s41, s16
	v_sub_co_u32_e32 v1, vcc, s40, v1
	s_cmp_lg_u64 vcc, 0
	s_subb_u32 s19, s0, s35
	v_subrev_co_u32_e64 v3, s[0:1], s34, v1
	s_cmp_lg_u64 s[0:1], 0
	s_subb_u32 s19, s19, 0
	s_cmp_ge_u32 s19, s35
	s_cselect_b32 s21, -1, 0
	v_cmp_le_u32_e64 s[0:1], s34, v3
	s_cmp_eq_u32 s19, s35
	v_cndmask_b32_e64 v3, 0, -1, s[0:1]
	v_mov_b32_e32 v4, s21
	s_cselect_b64 s[0:1], -1, 0
	v_cndmask_b32_e64 v3, v4, v3, s[0:1]
	s_add_u32 s0, s7, 1
	s_add_u32 s1, s7, 2
	v_mov_b32_e32 v4, s0
	v_mov_b32_e32 v5, s1
	v_cmp_ne_u32_e64 s[0:1], 0, v3
	s_cmp_lg_u64 vcc, 0
	v_cndmask_b32_e64 v3, v4, v5, s[0:1]
	s_subb_u32 s0, s41, s16
	s_cmp_ge_u32 s0, s35
	s_cselect_b32 s1, -1, 0
	v_cmp_le_u32_e32 vcc, s34, v1
	s_cmp_eq_u32 s0, s35
	v_cndmask_b32_e64 v1, 0, -1, vcc
	v_mov_b32_e32 v4, s1
	s_cselect_b64 vcc, -1, 0
	v_cndmask_b32_e32 v1, v4, v1, vcc
	v_mov_b32_e32 v4, s7
	v_cmp_ne_u32_e32 vcc, 0, v1
	v_cndmask_b32_e32 v1, v4, v3, vcc
	s_xor_b64 s[0:1], s[38:39], s[30:31]
	v_xor_b32_e32 v1, s0, v1
	v_subrev_co_u32_e32 v4, vcc, s0, v1
	s_load_dword s48, s[4:5], 0x5c
	s_cbranch_execnz .LBB1_10
.LBB1_9:
	v_cvt_f32_u32_e32 v1, s20
	s_sub_i32 s0, 0, s20
	v_rcp_iflag_f32_e32 v1, v1
	v_mul_f32_e32 v1, 0x4f7ffffe, v1
	v_cvt_u32_f32_e32 v1, v1
	v_mul_lo_u32 v3, s0, v1
	v_mul_hi_u32 v3, v1, v3
	v_add_u32_e32 v1, v1, v3
	v_mul_hi_u32 v1, s6, v1
	v_mul_lo_u32 v4, v1, s20
	v_sub_u32_e32 v4, s6, v4
	v_add_u32_e32 v3, 1, v1
	v_subrev_u32_e32 v5, s20, v4
	v_cmp_le_u32_e32 vcc, s20, v4
	v_cndmask_b32_e32 v4, v4, v5, vcc
	v_cndmask_b32_e32 v1, v1, v3, vcc
	v_add_u32_e32 v3, 1, v1
	v_cmp_le_u32_e32 vcc, s20, v4
	v_cndmask_b32_e32 v4, v1, v3, vcc
.LBB1_10:
	s_bfe_i64 s[6:7], s[26:27], 0x200000
	s_load_dwordx4 s[20:23], s[4:5], 0x0
	s_load_dwordx2 s[0:1], s[4:5], 0x10
	s_bfe_i64 s[4:5], s[28:29], 0x200000
	s_mul_i32 s6, s25, s24
	s_mul_hi_i32 s4, s25, s24
	s_mul_i32 s3, s6, s3
	s_mul_hi_u32 s29, s6, s2
	s_add_i32 s3, s29, s3
	s_mul_i32 s4, s4, s2
	s_add_i32 s3, s3, s4
	s_mul_i32 s2, s6, s2
	s_ashr_i32 s16, s24, 31
	s_ashr_i32 s27, s25, 31
	s_lshl_b64 s[30:31], s[2:3], 2
	s_waitcnt lgkmcnt(0)
	s_add_u32 s44, s22, s30
	s_addc_u32 s45, s23, s31
	s_lshl_b64 s[2:3], s[2:3], 3
	s_mov_b32 s19, s24
	s_add_u32 s46, s0, s2
	v_and_b32_e32 v18, 0x3ff, v0
	v_subrev_u32_e32 v0, s26, v4
	s_brev_b32 s2, -2
	s_addc_u32 s47, s1, s3
	v_add_u32_e32 v1, 1, v0
	v_cmp_gt_u32_e64 s[2:3], s2, v0
	v_cvt_f32_u32_e32 v0, s19
	s_mul_hi_u32 s4, s10, s26
	s_mul_i32 s6, s10, s7
	s_add_i32 s4, s4, s6
	s_mul_i32 s6, s11, s26
	v_rcp_iflag_f32_e32 v0, v0
	s_add_i32 s7, s4, s6
	s_mul_hi_u32 s4, s8, s28
	s_mul_i32 s5, s8, s5
	s_add_i32 s4, s4, s5
	s_mul_i32 s5, s9, s28
	s_mul_i32 s6, s10, s26
	s_add_i32 s5, s4, s5
	s_mul_i32 s4, s8, s28
	s_and_b32 s49, s36, 0xffff
	s_ashr_i32 s50, s17, 31
	s_ashr_i32 s52, s18, 31
	s_lshl_b64 s[6:7], s[6:7], 2
	s_lshl_b64 s[4:5], s[4:5], 2
	v_mul_f32_e32 v0, 0x4f7ffffe, v0
	s_add_u32 s4, s6, s4
	v_cvt_u32_f32_e32 v20, v0
	s_addc_u32 s5, s7, s5
	s_add_u32 s20, s20, s4
	s_mov_b32 s33, s25
	s_mul_i32 s48, s48, s37
	s_mov_b32 s51, s17
	v_cmp_gt_i32_e64 s[0:1], s25, v18
	s_mul_i32 s53, s26, s17
	v_max_i32_e32 v19, 1, v1
	s_addc_u32 s21, s21, s5
	s_lshl_b64 s[12:13], s[12:13], 2
	s_lshl_b64 s[14:15], s[14:15], 2
	;; [unrolled: 1-line block ×3, first 2 shown]
	s_mul_i32 s54, s18, s17
	s_mov_b64 s[28:29], 0
	v_mov_b32_e32 v1, 0
	s_branch .LBB1_12
.LBB1_11:                               ;   in Loop: Header=BB1_12 Depth=1
	s_or_b64 exec, exec, s[30:31]
	v_add_u32_e32 v2, s48, v2
	v_cmp_le_i32_e32 vcc, s24, v2
	s_or_b64 s[28:29], vcc, s[28:29]
	s_andn2_b64 exec, exec, s[28:29]
	s_cbranch_execz .LBB1_50
.LBB1_12:                               ; =>This Loop Header: Depth=1
                                        ;     Child Loop BB1_27 Depth 2
                                        ;       Child Loop BB1_43 Depth 3
                                        ;         Child Loop BB1_46 Depth 4
                                        ;           Child Loop BB1_48 Depth 5
	v_ashrrev_i32_e32 v3, 31, v2
	v_or_b32_e32 v5, s16, v3
	v_mov_b32_e32 v4, v1
	v_cmp_ne_u64_e32 vcc, 0, v[4:5]
                                        ; implicit-def: $vgpr6_vgpr7
	s_and_saveexec_b64 s[4:5], vcc
	s_xor_b64 s[4:5], exec, s[4:5]
	s_cbranch_execz .LBB1_14
; %bb.13:                               ;   in Loop: Header=BB1_12 Depth=1
	s_ashr_i32 s6, s19, 31
	s_add_i32 s7, s19, s6
	s_xor_b32 s7, s7, s6
	v_cvt_f32_u32_e32 v0, s7
	s_sub_i32 s8, 0, s7
	v_ashrrev_i32_e32 v4, 31, v2
	v_add_u32_e32 v5, v2, v4
	v_rcp_iflag_f32_e32 v0, v0
	v_xor_b32_e32 v5, v5, v4
	v_xor_b32_e32 v4, s6, v4
	v_mul_f32_e32 v0, 0x4f7ffffe, v0
	v_cvt_u32_f32_e32 v0, v0
	v_mul_lo_u32 v6, s8, v0
	v_mul_hi_u32 v6, v0, v6
	v_add_u32_e32 v0, v0, v6
	v_mul_hi_u32 v0, v5, v0
	v_mul_lo_u32 v6, v0, s7
	v_sub_u32_e32 v5, v5, v6
	v_add_u32_e32 v7, 1, v0
	v_subrev_u32_e32 v6, s7, v5
	v_cmp_le_u32_e32 vcc, s7, v5
	v_cndmask_b32_e32 v5, v5, v6, vcc
	v_cndmask_b32_e32 v0, v0, v7, vcc
	v_add_u32_e32 v6, 1, v0
	v_cmp_le_u32_e32 vcc, s7, v5
	v_cndmask_b32_e32 v0, v0, v6, vcc
	v_xor_b32_e32 v0, v0, v4
	v_sub_u32_e32 v6, v0, v4
	v_ashrrev_i32_e32 v7, 31, v6
.LBB1_14:                               ;   in Loop: Header=BB1_12 Depth=1
	s_andn2_saveexec_b64 s[4:5], s[4:5]
	s_cbranch_execz .LBB1_16
; %bb.15:                               ;   in Loop: Header=BB1_12 Depth=1
	s_sub_i32 s6, 0, s19
	v_mul_lo_u32 v0, s6, v20
	v_mul_hi_u32 v0, v20, v0
	v_add_u32_e32 v0, v20, v0
	v_mul_hi_u32 v0, v2, v0
	v_mul_lo_u32 v4, v0, s19
	v_sub_u32_e32 v4, v2, v4
	v_subrev_u32_e32 v5, s19, v4
	v_cmp_le_u32_e32 vcc, s19, v4
	v_cndmask_b32_e32 v4, v4, v5, vcc
	v_add_u32_e32 v5, 1, v0
	v_cndmask_b32_e32 v0, v0, v5, vcc
	v_add_u32_e32 v5, 1, v0
	v_cmp_le_u32_e32 vcc, s19, v4
	v_cndmask_b32_e32 v0, v0, v5, vcc
	v_pk_mov_b32 v[6:7], v[0:1], v[0:1] op_sel:[0,1]
.LBB1_16:                               ;   in Loop: Header=BB1_12 Depth=1
	s_or_b64 exec, exec, s[4:5]
	v_mul_lo_u32 v0, v7, s19
	v_mul_lo_u32 v7, v6, s16
	v_mad_u64_u32 v[4:5], s[4:5], v6, s19, 0
	v_add3_u32 v0, v5, v7, v0
	v_sub_co_u32_e32 v4, vcc, v2, v4
	v_subb_co_u32_e32 v0, vcc, v3, v0, vcc
	v_mul_lo_u32 v0, v0, s51
	v_mul_lo_u32 v7, v4, s50
	v_mad_u64_u32 v[4:5], s[4:5], v4, s51, 0
	v_add3_u32 v5, v5, v7, v0
	v_or_b32_e32 v9, s16, v5
	v_mov_b32_e32 v8, v1
	v_cmp_ne_u64_e32 vcc, 0, v[8:9]
                                        ; implicit-def: $vgpr8_vgpr9
	s_and_saveexec_b64 s[4:5], vcc
	s_xor_b64 s[6:7], exec, s[4:5]
	s_cbranch_execz .LBB1_18
; %bb.17:                               ;   in Loop: Header=BB1_12 Depth=1
	s_add_u32 s4, s19, s16
	s_mov_b32 s8, s16
	s_mov_b32 s9, s16
	s_addc_u32 s5, s16, s16
	s_xor_b64 s[10:11], s[4:5], s[8:9]
	v_cvt_f32_u32_e32 v0, s10
	v_cvt_f32_u32_e32 v7, s11
	s_sub_u32 s4, 0, s10
	s_subb_u32 s5, 0, s11
	v_mac_f32_e32 v0, 0x4f800000, v7
	v_rcp_f32_e32 v0, v0
	v_mul_f32_e32 v0, 0x5f7ffffc, v0
	v_mul_f32_e32 v7, 0x2f800000, v0
	v_trunc_f32_e32 v7, v7
	v_mac_f32_e32 v0, 0xcf800000, v7
	v_cvt_u32_f32_e32 v7, v7
	v_cvt_u32_f32_e32 v0, v0
	v_mul_lo_u32 v8, s4, v7
	v_mul_hi_u32 v10, s4, v0
	v_mul_lo_u32 v9, s5, v0
	v_add_u32_e32 v8, v10, v8
	v_mul_lo_u32 v11, s4, v0
	v_add_u32_e32 v8, v8, v9
	v_mul_lo_u32 v10, v0, v8
	v_mul_hi_u32 v12, v0, v11
	v_mul_hi_u32 v9, v0, v8
	v_add_co_u32_e32 v10, vcc, v12, v10
	v_addc_co_u32_e32 v9, vcc, 0, v9, vcc
	v_mul_hi_u32 v13, v7, v11
	v_mul_lo_u32 v11, v7, v11
	v_add_co_u32_e32 v10, vcc, v10, v11
	v_mul_hi_u32 v12, v7, v8
	v_addc_co_u32_e32 v9, vcc, v9, v13, vcc
	v_addc_co_u32_e32 v10, vcc, 0, v12, vcc
	v_mul_lo_u32 v8, v7, v8
	v_add_co_u32_e32 v8, vcc, v9, v8
	v_addc_co_u32_e32 v9, vcc, 0, v10, vcc
	v_add_co_u32_e32 v0, vcc, v0, v8
	v_addc_co_u32_e32 v7, vcc, v7, v9, vcc
	v_mul_lo_u32 v8, s4, v7
	v_mul_hi_u32 v9, s4, v0
	v_add_u32_e32 v8, v9, v8
	v_mul_lo_u32 v9, s5, v0
	v_add_u32_e32 v8, v8, v9
	v_mul_lo_u32 v10, s4, v0
	v_mul_hi_u32 v11, v7, v10
	v_mul_lo_u32 v12, v7, v10
	v_mul_lo_u32 v14, v0, v8
	v_mul_hi_u32 v10, v0, v10
	v_mul_hi_u32 v13, v0, v8
	v_add_co_u32_e32 v10, vcc, v10, v14
	v_addc_co_u32_e32 v13, vcc, 0, v13, vcc
	v_add_co_u32_e32 v10, vcc, v10, v12
	v_mul_hi_u32 v9, v7, v8
	v_addc_co_u32_e32 v10, vcc, v13, v11, vcc
	v_addc_co_u32_e32 v9, vcc, 0, v9, vcc
	v_mul_lo_u32 v8, v7, v8
	v_add_co_u32_e32 v8, vcc, v10, v8
	v_addc_co_u32_e32 v9, vcc, 0, v9, vcc
	v_add_co_u32_e32 v0, vcc, v0, v8
	v_addc_co_u32_e32 v7, vcc, v7, v9, vcc
	v_ashrrev_i32_e32 v10, 31, v5
	v_add_co_u32_e32 v4, vcc, v4, v10
	v_addc_co_u32_e32 v5, vcc, v5, v10, vcc
	v_xor_b32_e32 v12, v4, v10
	v_xor_b32_e32 v11, v5, v10
	v_mad_u64_u32 v[4:5], s[4:5], v12, v7, 0
	v_mul_hi_u32 v8, v12, v0
	v_add_co_u32_e32 v13, vcc, v8, v4
	v_addc_co_u32_e32 v14, vcc, 0, v5, vcc
	v_mad_u64_u32 v[8:9], s[4:5], v11, v0, 0
	v_add_co_u32_e32 v0, vcc, v13, v8
	v_mad_u64_u32 v[4:5], s[4:5], v11, v7, 0
	v_addc_co_u32_e32 v0, vcc, v14, v9, vcc
	v_addc_co_u32_e32 v5, vcc, 0, v5, vcc
	v_add_co_u32_e32 v0, vcc, v0, v4
	v_addc_co_u32_e32 v7, vcc, 0, v5, vcc
	v_mul_lo_u32 v8, s11, v0
	v_mul_lo_u32 v9, s10, v7
	v_mad_u64_u32 v[4:5], s[4:5], s10, v0, 0
	v_add3_u32 v5, v5, v9, v8
	v_sub_u32_e32 v8, v11, v5
	v_mov_b32_e32 v9, s11
	v_sub_co_u32_e32 v4, vcc, v12, v4
	v_subb_co_u32_e64 v8, s[4:5], v8, v9, vcc
	v_subrev_co_u32_e64 v9, s[4:5], s10, v4
	v_subbrev_co_u32_e64 v8, s[4:5], 0, v8, s[4:5]
	v_cmp_le_u32_e64 s[4:5], s11, v8
	v_cndmask_b32_e64 v12, 0, -1, s[4:5]
	v_cmp_le_u32_e64 s[4:5], s10, v9
	v_cndmask_b32_e64 v9, 0, -1, s[4:5]
	v_cmp_eq_u32_e64 s[4:5], s11, v8
	v_cndmask_b32_e64 v8, v12, v9, s[4:5]
	v_add_co_u32_e64 v9, s[4:5], 2, v0
	v_subb_co_u32_e32 v5, vcc, v11, v5, vcc
	v_addc_co_u32_e64 v12, s[4:5], 0, v7, s[4:5]
	v_cmp_le_u32_e32 vcc, s11, v5
	v_add_co_u32_e64 v13, s[4:5], 1, v0
	v_cndmask_b32_e64 v11, 0, -1, vcc
	v_cmp_le_u32_e32 vcc, s10, v4
	v_addc_co_u32_e64 v14, s[4:5], 0, v7, s[4:5]
	v_cndmask_b32_e64 v4, 0, -1, vcc
	v_cmp_eq_u32_e32 vcc, s11, v5
	v_cmp_ne_u32_e64 s[4:5], 0, v8
	v_cndmask_b32_e32 v4, v11, v4, vcc
	v_cndmask_b32_e64 v8, v14, v12, s[4:5]
	v_cmp_ne_u32_e32 vcc, 0, v4
	v_cndmask_b32_e64 v5, v13, v9, s[4:5]
	v_cndmask_b32_e32 v4, v7, v8, vcc
	v_cndmask_b32_e32 v0, v0, v5, vcc
	v_xor_b32_e32 v7, s8, v10
	v_xor_b32_e32 v5, s9, v10
	;; [unrolled: 1-line block ×4, first 2 shown]
	v_sub_co_u32_e32 v8, vcc, v0, v7
	v_subb_co_u32_e32 v9, vcc, v4, v5, vcc
                                        ; implicit-def: $vgpr4_vgpr5
.LBB1_18:                               ;   in Loop: Header=BB1_12 Depth=1
	s_andn2_saveexec_b64 s[4:5], s[6:7]
	s_cbranch_execz .LBB1_20
; %bb.19:                               ;   in Loop: Header=BB1_12 Depth=1
	s_sub_i32 s6, 0, s19
	v_mul_lo_u32 v0, s6, v20
	v_mul_hi_u32 v0, v20, v0
	v_add_u32_e32 v0, v20, v0
	v_mul_hi_u32 v0, v4, v0
	v_mul_lo_u32 v5, v0, s19
	v_sub_u32_e32 v4, v4, v5
	v_subrev_u32_e32 v5, s19, v4
	v_cmp_le_u32_e32 vcc, s19, v4
	v_cndmask_b32_e32 v4, v4, v5, vcc
	v_add_u32_e32 v5, 1, v0
	v_cndmask_b32_e32 v0, v0, v5, vcc
	v_add_u32_e32 v5, 1, v0
	v_cmp_le_u32_e32 vcc, s19, v4
	v_cndmask_b32_e32 v0, v0, v5, vcc
	v_pk_mov_b32 v[8:9], v[0:1], v[0:1] op_sel:[0,1]
.LBB1_20:                               ;   in Loop: Header=BB1_12 Depth=1
	s_or_b64 exec, exec, s[4:5]
	v_add_co_u32_e32 v0, vcc, 1, v2
	v_addc_co_u32_e32 v3, vcc, 0, v3, vcc
	v_mul_lo_u32 v7, v0, s50
	v_mul_lo_u32 v3, v3, s51
	v_mad_u64_u32 v[4:5], s[4:5], v0, s51, -1
	v_add3_u32 v5, v3, v5, v7
	v_or_b32_e32 v11, s16, v5
	v_mov_b32_e32 v10, v1
	v_cmp_ne_u64_e32 vcc, 0, v[10:11]
                                        ; implicit-def: $vgpr10_vgpr11
	s_and_saveexec_b64 s[4:5], vcc
	s_xor_b64 s[6:7], exec, s[4:5]
	s_cbranch_execnz .LBB1_23
; %bb.21:                               ;   in Loop: Header=BB1_12 Depth=1
	s_andn2_saveexec_b64 s[4:5], s[6:7]
	s_cbranch_execnz .LBB1_24
.LBB1_22:                               ;   in Loop: Header=BB1_12 Depth=1
	s_or_b64 exec, exec, s[4:5]
	s_and_saveexec_b64 s[30:31], s[0:1]
	s_cbranch_execz .LBB1_11
	s_branch .LBB1_25
.LBB1_23:                               ;   in Loop: Header=BB1_12 Depth=1
	s_add_u32 s4, s19, s16
	s_mov_b32 s8, s16
	s_mov_b32 s9, s16
	s_addc_u32 s5, s16, s16
	s_xor_b64 s[10:11], s[4:5], s[8:9]
	v_cvt_f32_u32_e32 v0, s10
	v_cvt_f32_u32_e32 v3, s11
	s_sub_u32 s4, 0, s10
	s_subb_u32 s5, 0, s11
	v_mac_f32_e32 v0, 0x4f800000, v3
	v_rcp_f32_e32 v0, v0
	v_mul_f32_e32 v0, 0x5f7ffffc, v0
	v_mul_f32_e32 v3, 0x2f800000, v0
	v_trunc_f32_e32 v3, v3
	v_mac_f32_e32 v0, 0xcf800000, v3
	v_cvt_u32_f32_e32 v3, v3
	v_cvt_u32_f32_e32 v0, v0
	v_mul_lo_u32 v7, s4, v3
	v_mul_hi_u32 v11, s4, v0
	v_mul_lo_u32 v10, s5, v0
	v_add_u32_e32 v7, v11, v7
	v_mul_lo_u32 v12, s4, v0
	v_add_u32_e32 v7, v7, v10
	v_mul_lo_u32 v11, v0, v7
	v_mul_hi_u32 v13, v0, v12
	v_mul_hi_u32 v10, v0, v7
	v_add_co_u32_e32 v11, vcc, v13, v11
	v_addc_co_u32_e32 v10, vcc, 0, v10, vcc
	v_mul_hi_u32 v14, v3, v12
	v_mul_lo_u32 v12, v3, v12
	v_add_co_u32_e32 v11, vcc, v11, v12
	v_mul_hi_u32 v13, v3, v7
	v_addc_co_u32_e32 v10, vcc, v10, v14, vcc
	v_addc_co_u32_e32 v11, vcc, 0, v13, vcc
	v_mul_lo_u32 v7, v3, v7
	v_add_co_u32_e32 v7, vcc, v10, v7
	v_addc_co_u32_e32 v10, vcc, 0, v11, vcc
	v_add_co_u32_e32 v0, vcc, v0, v7
	v_addc_co_u32_e32 v3, vcc, v3, v10, vcc
	v_mul_lo_u32 v7, s4, v3
	v_mul_hi_u32 v10, s4, v0
	v_add_u32_e32 v7, v10, v7
	v_mul_lo_u32 v10, s5, v0
	v_add_u32_e32 v7, v7, v10
	v_mul_lo_u32 v11, s4, v0
	v_mul_hi_u32 v12, v3, v11
	v_mul_lo_u32 v13, v3, v11
	v_mul_lo_u32 v15, v0, v7
	v_mul_hi_u32 v11, v0, v11
	v_mul_hi_u32 v14, v0, v7
	v_add_co_u32_e32 v11, vcc, v11, v15
	v_addc_co_u32_e32 v14, vcc, 0, v14, vcc
	v_add_co_u32_e32 v11, vcc, v11, v13
	v_mul_hi_u32 v10, v3, v7
	v_addc_co_u32_e32 v11, vcc, v14, v12, vcc
	v_addc_co_u32_e32 v10, vcc, 0, v10, vcc
	v_mul_lo_u32 v7, v3, v7
	v_add_co_u32_e32 v7, vcc, v11, v7
	v_addc_co_u32_e32 v10, vcc, 0, v10, vcc
	v_add_co_u32_e32 v0, vcc, v0, v7
	v_addc_co_u32_e32 v3, vcc, v3, v10, vcc
	v_ashrrev_i32_e32 v7, 31, v5
	v_add_co_u32_e32 v4, vcc, v4, v7
	v_addc_co_u32_e32 v5, vcc, v5, v7, vcc
	v_xor_b32_e32 v13, v4, v7
	v_xor_b32_e32 v12, v5, v7
	v_mad_u64_u32 v[4:5], s[4:5], v13, v3, 0
	v_mul_hi_u32 v10, v13, v0
	v_add_co_u32_e32 v14, vcc, v10, v4
	v_addc_co_u32_e32 v15, vcc, 0, v5, vcc
	v_mad_u64_u32 v[10:11], s[4:5], v12, v0, 0
	v_add_co_u32_e32 v0, vcc, v14, v10
	v_mad_u64_u32 v[4:5], s[4:5], v12, v3, 0
	v_addc_co_u32_e32 v0, vcc, v15, v11, vcc
	v_addc_co_u32_e32 v3, vcc, 0, v5, vcc
	v_add_co_u32_e32 v0, vcc, v0, v4
	v_addc_co_u32_e32 v3, vcc, 0, v3, vcc
	v_mul_lo_u32 v10, s11, v0
	v_mul_lo_u32 v3, s10, v3
	v_mad_u64_u32 v[4:5], s[4:5], s10, v0, 0
	v_add3_u32 v3, v5, v3, v10
	v_sub_u32_e32 v5, v12, v3
	v_mov_b32_e32 v10, s11
	v_sub_co_u32_e32 v4, vcc, v13, v4
	v_subb_co_u32_e64 v5, s[4:5], v5, v10, vcc
	v_subrev_co_u32_e64 v10, s[4:5], s10, v4
	v_subbrev_co_u32_e64 v5, s[4:5], 0, v5, s[4:5]
	v_cmp_le_u32_e64 s[4:5], s11, v5
	v_subb_co_u32_e32 v3, vcc, v12, v3, vcc
	v_cndmask_b32_e64 v11, 0, -1, s[4:5]
	v_cmp_le_u32_e64 s[4:5], s10, v10
	v_cmp_le_u32_e32 vcc, s11, v3
	v_cndmask_b32_e64 v10, 0, -1, s[4:5]
	v_cmp_eq_u32_e64 s[4:5], s11, v5
	v_cndmask_b32_e64 v12, 0, -1, vcc
	v_cmp_le_u32_e32 vcc, s10, v4
	v_cndmask_b32_e64 v5, v11, v10, s[4:5]
	v_cndmask_b32_e64 v4, 0, -1, vcc
	v_cmp_eq_u32_e32 vcc, s11, v3
	v_add_co_u32_e64 v10, s[4:5], 2, v0
	v_add_co_u32_e64 v11, s[4:5], 1, v0
	v_cndmask_b32_e32 v3, v12, v4, vcc
	v_cmp_ne_u32_e32 vcc, 0, v5
	v_cndmask_b32_e32 v4, v11, v10, vcc
	v_cmp_ne_u32_e32 vcc, 0, v3
	v_cndmask_b32_e32 v0, v0, v4, vcc
	v_xor_b32_e32 v3, s8, v7
	v_xor_b32_e32 v0, v0, v3
	v_sub_co_u32_e32 v10, vcc, v0, v3
                                        ; implicit-def: $vgpr4_vgpr5
	s_andn2_saveexec_b64 s[4:5], s[6:7]
	s_cbranch_execz .LBB1_22
.LBB1_24:                               ;   in Loop: Header=BB1_12 Depth=1
	s_sub_i32 s6, 0, s19
	v_mul_lo_u32 v0, s6, v20
	v_mul_hi_u32 v0, v20, v0
	v_add_u32_e32 v0, v20, v0
	v_mul_hi_u32 v0, v4, v0
	v_mul_lo_u32 v3, v0, s19
	v_sub_u32_e32 v3, v4, v3
	v_subrev_u32_e32 v4, s19, v3
	v_cmp_le_u32_e32 vcc, s19, v3
	v_cndmask_b32_e32 v3, v3, v4, vcc
	v_add_u32_e32 v4, 1, v0
	v_cndmask_b32_e32 v0, v0, v4, vcc
	v_add_u32_e32 v4, 1, v0
	v_cmp_le_u32_e32 vcc, s19, v3
	v_cndmask_b32_e32 v10, v0, v4, vcc
	s_or_b64 exec, exec, s[4:5]
	s_and_saveexec_b64 s[30:31], s[0:1]
	s_cbranch_execz .LBB1_11
.LBB1_25:                               ;   in Loop: Header=BB1_12 Depth=1
	v_mad_u64_u32 v[4:5], s[4:5], v6, s51, v[8:9]
	v_sub_u32_e32 v0, v10, v4
	v_mul_lo_u32 v10, v2, s25
	v_ashrrev_i32_e32 v11, 31, v10
	v_lshlrev_b64 v[12:13], 2, v[10:11]
	v_mov_b32_e32 v5, s45
	v_add_co_u32_e32 v21, vcc, s44, v12
	v_addc_co_u32_e32 v22, vcc, v5, v13, vcc
	v_lshlrev_b64 v[10:11], 3, v[10:11]
	v_mov_b32_e32 v5, s47
	v_add_co_u32_e32 v23, vcc, s46, v10
	v_add_u32_e32 v3, 1, v0
	v_ashrrev_i32_e32 v0, 31, v4
	v_addc_co_u32_e32 v24, vcc, v5, v11, vcc
	v_add_u32_e32 v5, s53, v4
	v_pk_mov_b32 v[10:11], s[20:21], s[20:21] op_sel:[0,1]
	v_mul_lo_u32 v25, v5, s18
	v_mul_lo_u32 v0, s12, v0
	v_mul_lo_u32 v7, s13, v4
	v_mad_u64_u32 v[4:5], s[6:7], s12, v4, v[10:11]
	v_add3_u32 v5, v7, v5, v0
	v_add_u32_e32 v0, s26, v6
	v_cmp_lt_i32_e64 s[4:5], 0, v3
	v_mad_u64_u32 v[6:7], s[6:7], s17, v0, v[8:9]
	s_mov_b64 s[34:35], 0
	v_mov_b32_e32 v0, v18
	s_branch .LBB1_27
.LBB1_26:                               ;   in Loop: Header=BB1_27 Depth=2
	v_lshlrev_b64 v[8:9], 2, v[0:1]
	v_add_co_u32_e32 v8, vcc, v21, v8
	v_addc_co_u32_e32 v9, vcc, v22, v9, vcc
	v_lshlrev_b64 v[10:11], 3, v[0:1]
	v_add_co_u32_e32 v10, vcc, v23, v10
	v_addc_co_u32_e32 v11, vcc, v24, v11, vcc
	v_add_u32_e32 v0, s49, v0
	v_cmp_le_i32_e32 vcc, s25, v0
	s_or_b64 s[34:35], vcc, s[34:35]
	global_store_dword v[8:9], v7, off
	global_store_dwordx2 v[10:11], v[12:13], off
	s_andn2_b64 exec, exec, s[34:35]
	s_cbranch_execz .LBB1_11
.LBB1_27:                               ;   Parent Loop BB1_12 Depth=1
                                        ; =>  This Loop Header: Depth=2
                                        ;       Child Loop BB1_43 Depth 3
                                        ;         Child Loop BB1_46 Depth 4
                                        ;           Child Loop BB1_48 Depth 5
	v_or_b32_e64 v9, 0, s27
	v_mov_b32_e32 v8, v1
	v_cmp_ne_u64_e32 vcc, 0, v[8:9]
                                        ; implicit-def: $vgpr8_vgpr9
	s_and_saveexec_b64 s[6:7], vcc
	s_xor_b64 s[8:9], exec, s[6:7]
	s_cbranch_execz .LBB1_29
; %bb.28:                               ;   in Loop: Header=BB1_27 Depth=2
	s_add_u32 s6, s33, s27
	s_mov_b32 s10, s27
	s_mov_b32 s11, s27
	s_addc_u32 s7, s27, s27
	s_xor_b64 s[36:37], s[6:7], s[10:11]
	v_cvt_f32_u32_e32 v7, s36
	v_cvt_f32_u32_e32 v8, s37
	s_sub_u32 s6, 0, s36
	s_subb_u32 s7, 0, s37
	v_mac_f32_e32 v7, 0x4f800000, v8
	v_rcp_f32_e32 v7, v7
	v_mul_f32_e32 v7, 0x5f7ffffc, v7
	v_mul_f32_e32 v8, 0x2f800000, v7
	v_trunc_f32_e32 v8, v8
	v_mac_f32_e32 v7, 0xcf800000, v8
	v_cvt_u32_f32_e32 v8, v8
	v_cvt_u32_f32_e32 v7, v7
	v_mul_lo_u32 v9, s6, v8
	v_mul_hi_u32 v11, s6, v7
	v_mul_lo_u32 v10, s7, v7
	v_add_u32_e32 v9, v11, v9
	v_mul_lo_u32 v12, s6, v7
	v_add_u32_e32 v9, v9, v10
	v_mul_lo_u32 v11, v7, v9
	v_mul_hi_u32 v13, v7, v12
	v_mul_hi_u32 v10, v7, v9
	v_add_co_u32_e32 v11, vcc, v13, v11
	v_addc_co_u32_e32 v10, vcc, 0, v10, vcc
	v_mul_hi_u32 v14, v8, v12
	v_mul_lo_u32 v12, v8, v12
	v_add_co_u32_e32 v11, vcc, v11, v12
	v_mul_hi_u32 v13, v8, v9
	v_addc_co_u32_e32 v10, vcc, v10, v14, vcc
	v_addc_co_u32_e32 v11, vcc, 0, v13, vcc
	v_mul_lo_u32 v9, v8, v9
	v_add_co_u32_e32 v9, vcc, v10, v9
	v_addc_co_u32_e32 v10, vcc, 0, v11, vcc
	v_add_co_u32_e32 v7, vcc, v7, v9
	v_addc_co_u32_e32 v8, vcc, v8, v10, vcc
	v_mul_lo_u32 v9, s6, v8
	v_mul_hi_u32 v10, s6, v7
	v_add_u32_e32 v9, v10, v9
	v_mul_lo_u32 v10, s7, v7
	v_add_u32_e32 v9, v9, v10
	v_mul_lo_u32 v11, s6, v7
	v_mul_hi_u32 v12, v8, v11
	v_mul_lo_u32 v13, v8, v11
	v_mul_lo_u32 v15, v7, v9
	v_mul_hi_u32 v11, v7, v11
	v_mul_hi_u32 v14, v7, v9
	v_add_co_u32_e32 v11, vcc, v11, v15
	v_addc_co_u32_e32 v14, vcc, 0, v14, vcc
	v_add_co_u32_e32 v11, vcc, v11, v13
	v_mul_hi_u32 v10, v8, v9
	v_addc_co_u32_e32 v11, vcc, v14, v12, vcc
	v_addc_co_u32_e32 v10, vcc, 0, v10, vcc
	v_mul_lo_u32 v9, v8, v9
	v_add_co_u32_e32 v9, vcc, v11, v9
	v_addc_co_u32_e32 v10, vcc, 0, v10, vcc
	v_add_co_u32_e32 v7, vcc, v7, v9
	v_addc_co_u32_e32 v10, vcc, v8, v10, vcc
	v_ashrrev_i32_e64 v12, 31, 0
	v_add_co_u32_e32 v8, vcc, v0, v12
	v_addc_co_u32_e32 v9, vcc, 0, v12, vcc
	v_xor_b32_e32 v14, v8, v12
	v_xor_b32_e32 v13, v9, v12
	v_mad_u64_u32 v[8:9], s[6:7], v14, v10, 0
	v_mul_hi_u32 v11, v14, v7
	v_add_co_u32_e32 v15, vcc, v11, v8
	v_addc_co_u32_e32 v16, vcc, 0, v9, vcc
	v_mad_u64_u32 v[8:9], s[6:7], v13, v10, 0
	v_mad_u64_u32 v[10:11], s[6:7], v13, v7, 0
	v_add_co_u32_e32 v7, vcc, v15, v10
	v_addc_co_u32_e32 v7, vcc, v16, v11, vcc
	v_addc_co_u32_e32 v9, vcc, 0, v9, vcc
	v_add_co_u32_e32 v7, vcc, v7, v8
	v_addc_co_u32_e32 v10, vcc, 0, v9, vcc
	v_mul_lo_u32 v11, s37, v7
	v_mul_lo_u32 v15, s36, v10
	v_mad_u64_u32 v[8:9], s[6:7], s36, v7, 0
	v_add3_u32 v9, v9, v15, v11
	v_sub_u32_e32 v11, v13, v9
	v_mov_b32_e32 v15, s37
	v_sub_co_u32_e32 v8, vcc, v14, v8
	v_subb_co_u32_e64 v11, s[6:7], v11, v15, vcc
	v_subrev_co_u32_e64 v14, s[6:7], s36, v8
	v_subbrev_co_u32_e64 v11, s[6:7], 0, v11, s[6:7]
	v_cmp_le_u32_e64 s[6:7], s37, v11
	v_cndmask_b32_e64 v15, 0, -1, s[6:7]
	v_cmp_le_u32_e64 s[6:7], s36, v14
	v_cndmask_b32_e64 v14, 0, -1, s[6:7]
	v_cmp_eq_u32_e64 s[6:7], s37, v11
	v_cndmask_b32_e64 v11, v15, v14, s[6:7]
	v_add_co_u32_e64 v14, s[6:7], 2, v7
	v_subb_co_u32_e32 v9, vcc, v13, v9, vcc
	v_addc_co_u32_e64 v15, s[6:7], 0, v10, s[6:7]
	v_cmp_le_u32_e32 vcc, s37, v9
	v_add_co_u32_e64 v16, s[6:7], 1, v7
	v_cndmask_b32_e64 v13, 0, -1, vcc
	v_cmp_le_u32_e32 vcc, s36, v8
	v_addc_co_u32_e64 v17, s[6:7], 0, v10, s[6:7]
	v_cndmask_b32_e64 v8, 0, -1, vcc
	v_cmp_eq_u32_e32 vcc, s37, v9
	v_cmp_ne_u32_e64 s[6:7], 0, v11
	v_cndmask_b32_e32 v8, v13, v8, vcc
	v_cndmask_b32_e64 v11, v17, v15, s[6:7]
	v_cmp_ne_u32_e32 vcc, 0, v8
	v_cndmask_b32_e64 v9, v16, v14, s[6:7]
	v_cndmask_b32_e32 v8, v10, v11, vcc
	v_cndmask_b32_e32 v7, v7, v9, vcc
	v_xor_b32_e32 v10, s10, v12
	v_xor_b32_e32 v9, s11, v12
	;; [unrolled: 1-line block ×4, first 2 shown]
	v_sub_co_u32_e32 v8, vcc, v7, v10
	v_subb_co_u32_e32 v9, vcc, v11, v9, vcc
.LBB1_29:                               ;   in Loop: Header=BB1_27 Depth=2
	s_or_saveexec_b64 s[6:7], s[8:9]
	v_cvt_f32_u32_e32 v7, s33
	s_xor_b64 exec, exec, s[6:7]
	s_cbranch_execz .LBB1_31
; %bb.30:                               ;   in Loop: Header=BB1_27 Depth=2
	v_rcp_iflag_f32_e32 v8, v7
	s_sub_i32 s8, 0, s33
	v_mul_f32_e32 v8, 0x4f7ffffe, v8
	v_cvt_u32_f32_e32 v8, v8
	v_mul_lo_u32 v9, s8, v8
	v_mul_hi_u32 v9, v8, v9
	v_add_u32_e32 v8, v8, v9
	v_mul_hi_u32 v8, v0, v8
	v_mul_lo_u32 v9, v8, s33
	v_sub_u32_e32 v9, v0, v9
	v_add_u32_e32 v10, 1, v8
	v_subrev_u32_e32 v11, s33, v9
	v_cmp_le_u32_e32 vcc, s33, v9
	v_cndmask_b32_e32 v9, v9, v11, vcc
	v_cndmask_b32_e32 v8, v8, v10, vcc
	v_add_u32_e32 v10, 1, v8
	v_cmp_le_u32_e32 vcc, s33, v9
	v_cndmask_b32_e32 v8, v8, v10, vcc
	v_mov_b32_e32 v9, v1
.LBB1_31:                               ;   in Loop: Header=BB1_27 Depth=2
	s_or_b64 exec, exec, s[6:7]
	v_mul_lo_u32 v9, v9, s33
	v_mul_lo_u32 v12, v8, s27
	v_mad_u64_u32 v[10:11], s[6:7], v8, s33, 0
	v_add3_u32 v9, v11, v12, v9
	v_sub_co_u32_e32 v10, vcc, v0, v10
	v_subb_co_u32_e32 v9, vcc, 0, v9, vcc
	v_mul_lo_u32 v9, v9, s18
	v_mul_lo_u32 v11, v10, s52
	v_mad_u64_u32 v[12:13], s[6:7], v10, s18, 0
	v_add3_u32 v13, v13, v11, v9
	v_or_b32_e32 v11, s27, v13
	v_mov_b32_e32 v10, v1
	v_cmp_ne_u64_e32 vcc, 0, v[10:11]
                                        ; implicit-def: $vgpr10_vgpr11
	s_and_saveexec_b64 s[6:7], vcc
	s_xor_b64 s[8:9], exec, s[6:7]
	s_cbranch_execz .LBB1_33
; %bb.32:                               ;   in Loop: Header=BB1_27 Depth=2
	s_add_u32 s6, s33, s27
	s_mov_b32 s10, s27
	s_mov_b32 s11, s27
	s_addc_u32 s7, s27, s27
	s_xor_b64 s[36:37], s[6:7], s[10:11]
	v_cvt_f32_u32_e32 v9, s36
	v_cvt_f32_u32_e32 v10, s37
	s_sub_u32 s6, 0, s36
	s_subb_u32 s7, 0, s37
	v_mac_f32_e32 v9, 0x4f800000, v10
	v_rcp_f32_e32 v9, v9
	v_mul_f32_e32 v9, 0x5f7ffffc, v9
	v_mul_f32_e32 v10, 0x2f800000, v9
	v_trunc_f32_e32 v10, v10
	v_mac_f32_e32 v9, 0xcf800000, v10
	v_cvt_u32_f32_e32 v10, v10
	v_cvt_u32_f32_e32 v9, v9
	v_mul_lo_u32 v11, s6, v10
	v_mul_hi_u32 v15, s6, v9
	v_mul_lo_u32 v14, s7, v9
	v_add_u32_e32 v11, v15, v11
	v_mul_lo_u32 v16, s6, v9
	v_add_u32_e32 v11, v11, v14
	v_mul_lo_u32 v15, v9, v11
	v_mul_hi_u32 v17, v9, v16
	v_mul_hi_u32 v14, v9, v11
	v_add_co_u32_e32 v15, vcc, v17, v15
	v_addc_co_u32_e32 v14, vcc, 0, v14, vcc
	v_mul_hi_u32 v26, v10, v16
	v_mul_lo_u32 v16, v10, v16
	v_add_co_u32_e32 v15, vcc, v15, v16
	v_mul_hi_u32 v17, v10, v11
	v_addc_co_u32_e32 v14, vcc, v14, v26, vcc
	v_addc_co_u32_e32 v15, vcc, 0, v17, vcc
	v_mul_lo_u32 v11, v10, v11
	v_add_co_u32_e32 v11, vcc, v14, v11
	v_addc_co_u32_e32 v14, vcc, 0, v15, vcc
	v_add_co_u32_e32 v9, vcc, v9, v11
	v_addc_co_u32_e32 v10, vcc, v10, v14, vcc
	v_mul_lo_u32 v11, s6, v10
	v_mul_hi_u32 v14, s6, v9
	v_add_u32_e32 v11, v14, v11
	v_mul_lo_u32 v14, s7, v9
	v_add_u32_e32 v11, v11, v14
	v_mul_lo_u32 v15, s6, v9
	v_mul_hi_u32 v16, v10, v15
	v_mul_lo_u32 v17, v10, v15
	v_mul_lo_u32 v27, v9, v11
	v_mul_hi_u32 v15, v9, v15
	v_mul_hi_u32 v26, v9, v11
	v_add_co_u32_e32 v15, vcc, v15, v27
	v_addc_co_u32_e32 v26, vcc, 0, v26, vcc
	v_add_co_u32_e32 v15, vcc, v15, v17
	v_mul_hi_u32 v14, v10, v11
	v_addc_co_u32_e32 v15, vcc, v26, v16, vcc
	v_addc_co_u32_e32 v14, vcc, 0, v14, vcc
	v_mul_lo_u32 v11, v10, v11
	v_add_co_u32_e32 v11, vcc, v15, v11
	v_addc_co_u32_e32 v14, vcc, 0, v14, vcc
	v_add_co_u32_e32 v9, vcc, v9, v11
	v_addc_co_u32_e32 v14, vcc, v10, v14, vcc
	v_ashrrev_i32_e32 v15, 31, v13
	v_add_co_u32_e32 v10, vcc, v12, v15
	v_addc_co_u32_e32 v11, vcc, v13, v15, vcc
	v_xor_b32_e32 v17, v10, v15
	v_xor_b32_e32 v16, v11, v15
	v_mad_u64_u32 v[10:11], s[6:7], v17, v14, 0
	v_mul_hi_u32 v12, v17, v9
	v_add_co_u32_e32 v26, vcc, v12, v10
	v_addc_co_u32_e32 v27, vcc, 0, v11, vcc
	v_mad_u64_u32 v[12:13], s[6:7], v16, v9, 0
	v_add_co_u32_e32 v9, vcc, v26, v12
	v_mad_u64_u32 v[10:11], s[6:7], v16, v14, 0
	v_addc_co_u32_e32 v9, vcc, v27, v13, vcc
	v_addc_co_u32_e32 v11, vcc, 0, v11, vcc
	v_add_co_u32_e32 v9, vcc, v9, v10
	v_addc_co_u32_e32 v12, vcc, 0, v11, vcc
	v_mul_lo_u32 v13, s37, v9
	v_mul_lo_u32 v14, s36, v12
	v_mad_u64_u32 v[10:11], s[6:7], s36, v9, 0
	v_add3_u32 v11, v11, v14, v13
	v_sub_u32_e32 v13, v16, v11
	v_mov_b32_e32 v14, s37
	v_sub_co_u32_e32 v10, vcc, v17, v10
	v_subb_co_u32_e64 v13, s[6:7], v13, v14, vcc
	v_subrev_co_u32_e64 v14, s[6:7], s36, v10
	v_subbrev_co_u32_e64 v13, s[6:7], 0, v13, s[6:7]
	v_cmp_le_u32_e64 s[6:7], s37, v13
	v_cndmask_b32_e64 v17, 0, -1, s[6:7]
	v_cmp_le_u32_e64 s[6:7], s36, v14
	v_cndmask_b32_e64 v14, 0, -1, s[6:7]
	v_cmp_eq_u32_e64 s[6:7], s37, v13
	v_cndmask_b32_e64 v13, v17, v14, s[6:7]
	v_add_co_u32_e64 v14, s[6:7], 2, v9
	v_subb_co_u32_e32 v11, vcc, v16, v11, vcc
	v_addc_co_u32_e64 v17, s[6:7], 0, v12, s[6:7]
	v_cmp_le_u32_e32 vcc, s37, v11
	v_add_co_u32_e64 v26, s[6:7], 1, v9
	v_cndmask_b32_e64 v16, 0, -1, vcc
	v_cmp_le_u32_e32 vcc, s36, v10
	v_addc_co_u32_e64 v27, s[6:7], 0, v12, s[6:7]
	v_cndmask_b32_e64 v10, 0, -1, vcc
	v_cmp_eq_u32_e32 vcc, s37, v11
	v_cmp_ne_u32_e64 s[6:7], 0, v13
	v_cndmask_b32_e32 v10, v16, v10, vcc
	v_cndmask_b32_e64 v13, v27, v17, s[6:7]
	v_cmp_ne_u32_e32 vcc, 0, v10
	v_cndmask_b32_e64 v11, v26, v14, s[6:7]
	v_cndmask_b32_e32 v10, v12, v13, vcc
	v_cndmask_b32_e32 v9, v9, v11, vcc
	v_xor_b32_e32 v12, s10, v15
	v_xor_b32_e32 v11, s11, v15
	;; [unrolled: 1-line block ×4, first 2 shown]
	v_sub_co_u32_e32 v10, vcc, v9, v12
	v_subb_co_u32_e32 v11, vcc, v13, v11, vcc
                                        ; implicit-def: $vgpr12_vgpr13
.LBB1_33:                               ;   in Loop: Header=BB1_27 Depth=2
	s_andn2_saveexec_b64 s[6:7], s[8:9]
	s_cbranch_execz .LBB1_35
; %bb.34:                               ;   in Loop: Header=BB1_27 Depth=2
	v_rcp_iflag_f32_e32 v9, v7
	s_sub_i32 s8, 0, s33
	v_mul_f32_e32 v9, 0x4f7ffffe, v9
	v_cvt_u32_f32_e32 v9, v9
	v_mul_lo_u32 v10, s8, v9
	v_mul_hi_u32 v10, v9, v10
	v_add_u32_e32 v9, v9, v10
	v_mul_hi_u32 v9, v12, v9
	v_mul_lo_u32 v10, v9, s33
	v_sub_u32_e32 v10, v12, v10
	v_add_u32_e32 v11, 1, v9
	v_subrev_u32_e32 v12, s33, v10
	v_cmp_le_u32_e32 vcc, s33, v10
	v_cndmask_b32_e32 v10, v10, v12, vcc
	v_cndmask_b32_e32 v9, v9, v11, vcc
	v_add_u32_e32 v11, 1, v9
	v_cmp_le_u32_e32 vcc, s33, v10
	v_cndmask_b32_e32 v10, v9, v11, vcc
	v_mov_b32_e32 v11, v1
.LBB1_35:                               ;   in Loop: Header=BB1_27 Depth=2
	s_or_b64 exec, exec, s[6:7]
	v_add_co_u32_e32 v9, vcc, 1, v0
	v_addc_co_u32_e64 v12, s[6:7], 0, 0, vcc
	v_mul_lo_u32 v14, v9, s52
	v_mul_lo_u32 v15, v12, s18
	v_mad_u64_u32 v[12:13], s[6:7], v9, s18, -1
	v_add3_u32 v13, v15, v13, v14
	v_or_b32_e32 v15, s27, v13
	v_mov_b32_e32 v14, v1
	v_cmp_ne_u64_e32 vcc, 0, v[14:15]
                                        ; implicit-def: $vgpr14_vgpr15
	s_and_saveexec_b64 s[6:7], vcc
	s_xor_b64 s[8:9], exec, s[6:7]
	s_cbranch_execz .LBB1_37
; %bb.36:                               ;   in Loop: Header=BB1_27 Depth=2
	s_add_u32 s6, s33, s27
	s_mov_b32 s10, s27
	s_mov_b32 s11, s27
	s_addc_u32 s7, s27, s27
	s_xor_b64 s[36:37], s[6:7], s[10:11]
	v_cvt_f32_u32_e32 v7, s36
	v_cvt_f32_u32_e32 v9, s37
	s_sub_u32 s6, 0, s36
	s_subb_u32 s7, 0, s37
	v_mac_f32_e32 v7, 0x4f800000, v9
	v_rcp_f32_e32 v7, v7
	v_mul_f32_e32 v7, 0x5f7ffffc, v7
	v_mul_f32_e32 v9, 0x2f800000, v7
	v_trunc_f32_e32 v9, v9
	v_mac_f32_e32 v7, 0xcf800000, v9
	v_cvt_u32_f32_e32 v9, v9
	v_cvt_u32_f32_e32 v7, v7
	v_mul_lo_u32 v14, s6, v9
	v_mul_hi_u32 v16, s6, v7
	v_mul_lo_u32 v15, s7, v7
	v_add_u32_e32 v14, v16, v14
	v_mul_lo_u32 v17, s6, v7
	v_add_u32_e32 v14, v14, v15
	v_mul_lo_u32 v16, v7, v14
	v_mul_hi_u32 v26, v7, v17
	v_mul_hi_u32 v15, v7, v14
	v_add_co_u32_e32 v16, vcc, v26, v16
	v_addc_co_u32_e32 v15, vcc, 0, v15, vcc
	v_mul_hi_u32 v27, v9, v17
	v_mul_lo_u32 v17, v9, v17
	v_add_co_u32_e32 v16, vcc, v16, v17
	v_mul_hi_u32 v26, v9, v14
	v_addc_co_u32_e32 v15, vcc, v15, v27, vcc
	v_addc_co_u32_e32 v16, vcc, 0, v26, vcc
	v_mul_lo_u32 v14, v9, v14
	v_add_co_u32_e32 v14, vcc, v15, v14
	v_addc_co_u32_e32 v15, vcc, 0, v16, vcc
	v_add_co_u32_e32 v7, vcc, v7, v14
	v_addc_co_u32_e32 v9, vcc, v9, v15, vcc
	v_mul_lo_u32 v14, s6, v9
	v_mul_hi_u32 v15, s6, v7
	v_add_u32_e32 v14, v15, v14
	v_mul_lo_u32 v15, s7, v7
	v_add_u32_e32 v14, v14, v15
	v_mul_lo_u32 v16, s6, v7
	v_mul_hi_u32 v17, v9, v16
	v_mul_lo_u32 v26, v9, v16
	v_mul_lo_u32 v28, v7, v14
	v_mul_hi_u32 v16, v7, v16
	v_mul_hi_u32 v27, v7, v14
	v_add_co_u32_e32 v16, vcc, v16, v28
	v_addc_co_u32_e32 v27, vcc, 0, v27, vcc
	v_add_co_u32_e32 v16, vcc, v16, v26
	v_mul_hi_u32 v15, v9, v14
	v_addc_co_u32_e32 v16, vcc, v27, v17, vcc
	v_addc_co_u32_e32 v15, vcc, 0, v15, vcc
	v_mul_lo_u32 v14, v9, v14
	v_add_co_u32_e32 v14, vcc, v16, v14
	v_addc_co_u32_e32 v15, vcc, 0, v15, vcc
	v_add_co_u32_e32 v7, vcc, v7, v14
	v_addc_co_u32_e32 v9, vcc, v9, v15, vcc
	v_ashrrev_i32_e32 v16, 31, v13
	v_add_co_u32_e32 v12, vcc, v12, v16
	v_addc_co_u32_e32 v13, vcc, v13, v16, vcc
	v_xor_b32_e32 v26, v12, v16
	v_xor_b32_e32 v17, v13, v16
	v_mad_u64_u32 v[12:13], s[6:7], v26, v9, 0
	v_mul_hi_u32 v14, v26, v7
	v_add_co_u32_e32 v27, vcc, v14, v12
	v_addc_co_u32_e32 v28, vcc, 0, v13, vcc
	v_mad_u64_u32 v[14:15], s[6:7], v17, v7, 0
	v_add_co_u32_e32 v7, vcc, v27, v14
	v_mad_u64_u32 v[12:13], s[6:7], v17, v9, 0
	v_addc_co_u32_e32 v7, vcc, v28, v15, vcc
	v_addc_co_u32_e32 v9, vcc, 0, v13, vcc
	v_add_co_u32_e32 v7, vcc, v7, v12
	v_addc_co_u32_e32 v9, vcc, 0, v9, vcc
	v_mul_lo_u32 v14, s37, v7
	v_mul_lo_u32 v9, s36, v9
	v_mad_u64_u32 v[12:13], s[6:7], s36, v7, 0
	v_add3_u32 v9, v13, v9, v14
	v_sub_u32_e32 v13, v17, v9
	v_mov_b32_e32 v14, s37
	v_sub_co_u32_e32 v12, vcc, v26, v12
	v_subb_co_u32_e64 v13, s[6:7], v13, v14, vcc
	v_subrev_co_u32_e64 v14, s[6:7], s36, v12
	v_subbrev_co_u32_e64 v13, s[6:7], 0, v13, s[6:7]
	v_cmp_le_u32_e64 s[6:7], s37, v13
	v_subb_co_u32_e32 v9, vcc, v17, v9, vcc
	v_cndmask_b32_e64 v15, 0, -1, s[6:7]
	v_cmp_le_u32_e64 s[6:7], s36, v14
	v_cmp_le_u32_e32 vcc, s37, v9
	v_cndmask_b32_e64 v14, 0, -1, s[6:7]
	v_cmp_eq_u32_e64 s[6:7], s37, v13
	v_cndmask_b32_e64 v17, 0, -1, vcc
	v_cmp_le_u32_e32 vcc, s36, v12
	v_cndmask_b32_e64 v13, v15, v14, s[6:7]
	v_cndmask_b32_e64 v12, 0, -1, vcc
	v_cmp_eq_u32_e32 vcc, s37, v9
	v_add_co_u32_e64 v14, s[6:7], 2, v7
	v_add_co_u32_e64 v15, s[6:7], 1, v7
	v_cndmask_b32_e32 v9, v17, v12, vcc
	v_cmp_ne_u32_e32 vcc, 0, v13
	v_cndmask_b32_e32 v12, v15, v14, vcc
	v_cmp_ne_u32_e32 vcc, 0, v9
	v_cndmask_b32_e32 v7, v7, v12, vcc
	v_xor_b32_e32 v9, s10, v16
	v_xor_b32_e32 v7, v7, v9
	v_sub_co_u32_e32 v14, vcc, v7, v9
                                        ; implicit-def: $vgpr7
                                        ; implicit-def: $vgpr12_vgpr13
.LBB1_37:                               ;   in Loop: Header=BB1_27 Depth=2
	s_andn2_saveexec_b64 s[6:7], s[8:9]
	s_cbranch_execz .LBB1_39
; %bb.38:                               ;   in Loop: Header=BB1_27 Depth=2
	v_rcp_iflag_f32_e32 v7, v7
	s_sub_i32 s8, 0, s33
	v_mul_f32_e32 v7, 0x4f7ffffe, v7
	v_cvt_u32_f32_e32 v7, v7
	v_mul_lo_u32 v9, s8, v7
	v_mul_hi_u32 v9, v7, v9
	v_add_u32_e32 v7, v7, v9
	v_mul_hi_u32 v7, v12, v7
	v_mul_lo_u32 v9, v7, s33
	v_sub_u32_e32 v9, v12, v9
	v_add_u32_e32 v13, 1, v7
	v_subrev_u32_e32 v12, s33, v9
	v_cmp_le_u32_e32 vcc, s33, v9
	v_cndmask_b32_e32 v9, v9, v12, vcc
	v_cndmask_b32_e32 v7, v7, v13, vcc
	v_add_u32_e32 v12, 1, v7
	v_cmp_le_u32_e32 vcc, s33, v9
	v_cndmask_b32_e32 v14, v7, v12, vcc
.LBB1_39:                               ;   in Loop: Header=BB1_27 Depth=2
	s_or_b64 exec, exec, s[6:7]
	v_mad_u64_u32 v[16:17], s[6:7], v8, s18, v[10:11]
	v_add_u32_e32 v12, v25, v16
	v_ashrrev_i32_e32 v13, 31, v12
	s_andn2_b64 vcc, exec, s[2:3]
	v_mov_b32_e32 v7, 0xff800000
	s_cbranch_vccnz .LBB1_26
; %bb.40:                               ;   in Loop: Header=BB1_27 Depth=2
	v_sub_u32_e32 v7, v14, v16
	v_add_u32_e32 v26, 1, v7
	v_ashrrev_i32_e32 v7, 31, v16
	v_mad_u64_u32 v[14:15], s[8:9], s14, v16, v[4:5]
	v_mul_lo_u32 v9, s15, v16
	v_mul_lo_u32 v7, s14, v7
	v_add3_u32 v15, v9, v15, v7
	v_add_u32_e32 v7, v6, v8
	s_mov_b32 s55, 0
	v_cmp_lt_i32_e64 s[6:7], 0, v26
	v_mad_u64_u32 v[8:9], s[8:9], s18, v7, v[10:11]
	v_mov_b32_e32 v7, 0xff800000
	s_branch .LBB1_43
.LBB1_41:                               ;   in Loop: Header=BB1_43 Depth=3
	s_or_b64 exec, exec, s[38:39]
.LBB1_42:                               ;   in Loop: Header=BB1_43 Depth=3
	s_or_b64 exec, exec, s[36:37]
	v_mov_b32_e32 v9, s23
	v_add_co_u32_e32 v14, vcc, s22, v14
	s_add_i32 s55, s55, 1
	v_addc_co_u32_e32 v15, vcc, v15, v9, vcc
	v_cmp_ne_u32_e32 vcc, s55, v19
	v_add_u32_e32 v8, s54, v8
	s_cbranch_vccz .LBB1_26
.LBB1_43:                               ;   Parent Loop BB1_12 Depth=1
                                        ;     Parent Loop BB1_27 Depth=2
                                        ; =>    This Loop Header: Depth=3
                                        ;         Child Loop BB1_46 Depth 4
                                        ;           Child Loop BB1_48 Depth 5
	s_and_saveexec_b64 s[36:37], s[4:5]
	s_cbranch_execz .LBB1_42
; %bb.44:                               ;   in Loop: Header=BB1_43 Depth=3
	s_mov_b32 s56, 0
	s_mov_b64 s[38:39], 0
	v_mov_b32_e32 v9, v8
	v_pk_mov_b32 v[10:11], v[14:15], v[14:15] op_sel:[0,1]
	s_branch .LBB1_46
.LBB1_45:                               ;   in Loop: Header=BB1_46 Depth=4
	s_or_b64 exec, exec, s[40:41]
	v_mov_b32_e32 v16, s13
	v_add_co_u32_e32 v10, vcc, s12, v10
	s_add_i32 s56, s56, 1
	v_addc_co_u32_e32 v11, vcc, v11, v16, vcc
	v_cmp_ge_i32_e32 vcc, s56, v3
	s_or_b64 s[38:39], vcc, s[38:39]
	v_add_u32_e32 v9, s18, v9
	s_andn2_b64 exec, exec, s[38:39]
	s_cbranch_execz .LBB1_41
.LBB1_46:                               ;   Parent Loop BB1_12 Depth=1
                                        ;     Parent Loop BB1_27 Depth=2
                                        ;       Parent Loop BB1_43 Depth=3
                                        ; =>      This Loop Header: Depth=4
                                        ;           Child Loop BB1_48 Depth 5
	s_and_saveexec_b64 s[40:41], s[6:7]
	s_cbranch_execz .LBB1_45
; %bb.47:                               ;   in Loop: Header=BB1_46 Depth=4
	s_mov_b32 s57, 0
	s_mov_b64 s[42:43], 0
	v_pk_mov_b32 v[16:17], v[10:11], v[10:11] op_sel:[0,1]
.LBB1_48:                               ;   Parent Loop BB1_12 Depth=1
                                        ;     Parent Loop BB1_27 Depth=2
                                        ;       Parent Loop BB1_43 Depth=3
                                        ;         Parent Loop BB1_46 Depth=4
                                        ; =>        This Inner Loop Header: Depth=5
	global_load_dword v27, v[16:17], off
	v_mov_b32_e32 v29, s15
	v_add_co_u32_e32 v16, vcc, s14, v16
	v_add_u32_e32 v28, s57, v9
	s_add_i32 s57, s57, 1
	v_addc_co_u32_e32 v17, vcc, v17, v29, vcc
	v_ashrrev_i32_e32 v30, 31, v28
	v_cmp_ge_i32_e32 vcc, s57, v26
	s_waitcnt vmcnt(0)
	v_cmp_gt_f32_e64 s[8:9], v27, v7
	v_cmp_u_f32_e64 s[10:11], v27, v27
	s_or_b64 s[8:9], s[8:9], s[10:11]
	v_cndmask_b32_e64 v13, v13, v30, s[8:9]
	v_cndmask_b32_e64 v12, v12, v28, s[8:9]
	s_or_b64 s[42:43], vcc, s[42:43]
	v_cndmask_b32_e64 v7, v7, v27, s[8:9]
	s_andn2_b64 exec, exec, s[42:43]
	s_cbranch_execnz .LBB1_48
; %bb.49:                               ;   in Loop: Header=BB1_46 Depth=4
	s_or_b64 exec, exec, s[42:43]
	s_branch .LBB1_45
.LBB1_50:
	s_endpgm
.LBB1_51:
                                        ; implicit-def: $sgpr28_sgpr29
	s_branch .LBB1_2
.LBB1_52:
                                        ; implicit-def: $sgpr26_sgpr27
	s_load_dword s36, s[4:5], 0x64
	s_branch .LBB1_5
.LBB1_53:
                                        ; implicit-def: $vgpr4_vgpr5
	s_load_dword s48, s[4:5], 0x5c
	s_andn2_b64 vcc, exec, s[22:23]
	s_cbranch_vccz .LBB1_9
	s_branch .LBB1_10
	.section	.rodata,"a",@progbits
	.p2align	6, 0x0
	.amdhsa_kernel _ZN2at6native12_GLOBAL__N_115adaptivemaxpoolIfEEvPKT_PS3_Pliiiiiilllll
		.amdhsa_group_segment_fixed_size 0
		.amdhsa_private_segment_fixed_size 0
		.amdhsa_kernarg_size 344
		.amdhsa_user_sgpr_count 6
		.amdhsa_user_sgpr_private_segment_buffer 1
		.amdhsa_user_sgpr_dispatch_ptr 0
		.amdhsa_user_sgpr_queue_ptr 0
		.amdhsa_user_sgpr_kernarg_segment_ptr 1
		.amdhsa_user_sgpr_dispatch_id 0
		.amdhsa_user_sgpr_flat_scratch_init 0
		.amdhsa_user_sgpr_kernarg_preload_length 0
		.amdhsa_user_sgpr_kernarg_preload_offset 0
		.amdhsa_user_sgpr_private_segment_size 0
		.amdhsa_uses_dynamic_stack 0
		.amdhsa_system_sgpr_private_segment_wavefront_offset 0
		.amdhsa_system_sgpr_workgroup_id_x 1
		.amdhsa_system_sgpr_workgroup_id_y 1
		.amdhsa_system_sgpr_workgroup_id_z 0
		.amdhsa_system_sgpr_workgroup_info 0
		.amdhsa_system_vgpr_workitem_id 1
		.amdhsa_next_free_vgpr 31
		.amdhsa_next_free_sgpr 58
		.amdhsa_accum_offset 32
		.amdhsa_reserve_vcc 1
		.amdhsa_reserve_flat_scratch 0
		.amdhsa_float_round_mode_32 0
		.amdhsa_float_round_mode_16_64 0
		.amdhsa_float_denorm_mode_32 3
		.amdhsa_float_denorm_mode_16_64 3
		.amdhsa_dx10_clamp 1
		.amdhsa_ieee_mode 1
		.amdhsa_fp16_overflow 0
		.amdhsa_tg_split 0
		.amdhsa_exception_fp_ieee_invalid_op 0
		.amdhsa_exception_fp_denorm_src 0
		.amdhsa_exception_fp_ieee_div_zero 0
		.amdhsa_exception_fp_ieee_overflow 0
		.amdhsa_exception_fp_ieee_underflow 0
		.amdhsa_exception_fp_ieee_inexact 0
		.amdhsa_exception_int_div_zero 0
	.end_amdhsa_kernel
	.section	.text._ZN2at6native12_GLOBAL__N_115adaptivemaxpoolIfEEvPKT_PS3_Pliiiiiilllll,"axG",@progbits,_ZN2at6native12_GLOBAL__N_115adaptivemaxpoolIfEEvPKT_PS3_Pliiiiiilllll,comdat
.Lfunc_end1:
	.size	_ZN2at6native12_GLOBAL__N_115adaptivemaxpoolIfEEvPKT_PS3_Pliiiiiilllll, .Lfunc_end1-_ZN2at6native12_GLOBAL__N_115adaptivemaxpoolIfEEvPKT_PS3_Pliiiiiilllll
                                        ; -- End function
	.section	.AMDGPU.csdata,"",@progbits
; Kernel info:
; codeLenInByte = 7544
; NumSgprs: 62
; NumVgprs: 31
; NumAgprs: 0
; TotalNumVgprs: 31
; ScratchSize: 0
; MemoryBound: 0
; FloatMode: 240
; IeeeMode: 1
; LDSByteSize: 0 bytes/workgroup (compile time only)
; SGPRBlocks: 7
; VGPRBlocks: 3
; NumSGPRsForWavesPerEU: 62
; NumVGPRsForWavesPerEU: 31
; AccumOffset: 32
; Occupancy: 8
; WaveLimiterHint : 0
; COMPUTE_PGM_RSRC2:SCRATCH_EN: 0
; COMPUTE_PGM_RSRC2:USER_SGPR: 6
; COMPUTE_PGM_RSRC2:TRAP_HANDLER: 0
; COMPUTE_PGM_RSRC2:TGID_X_EN: 1
; COMPUTE_PGM_RSRC2:TGID_Y_EN: 1
; COMPUTE_PGM_RSRC2:TGID_Z_EN: 0
; COMPUTE_PGM_RSRC2:TIDIG_COMP_CNT: 1
; COMPUTE_PGM_RSRC3_GFX90A:ACCUM_OFFSET: 7
; COMPUTE_PGM_RSRC3_GFX90A:TG_SPLIT: 0
	.section	.text._ZN2at6native12_GLOBAL__N_115adaptivemaxpoolIN3c104HalfEEEvPKT_PS5_Pliiiiiilllll,"axG",@progbits,_ZN2at6native12_GLOBAL__N_115adaptivemaxpoolIN3c104HalfEEEvPKT_PS5_Pliiiiiilllll,comdat
	.globl	_ZN2at6native12_GLOBAL__N_115adaptivemaxpoolIN3c104HalfEEEvPKT_PS5_Pliiiiiilllll ; -- Begin function _ZN2at6native12_GLOBAL__N_115adaptivemaxpoolIN3c104HalfEEEvPKT_PS5_Pliiiiiilllll
	.p2align	8
	.type	_ZN2at6native12_GLOBAL__N_115adaptivemaxpoolIN3c104HalfEEEvPKT_PS5_Pliiiiiilllll,@function
_ZN2at6native12_GLOBAL__N_115adaptivemaxpoolIN3c104HalfEEEvPKT_PS5_Pliiiiiilllll: ; @_ZN2at6native12_GLOBAL__N_115adaptivemaxpoolIN3c104HalfEEEvPKT_PS5_Pliiiiiilllll
; %bb.0:
	s_load_dwordx2 s[0:1], s[4:5], 0x50
	s_load_dwordx4 s[16:19], s[4:5], 0x18
	s_load_dwordx2 s[24:25], s[4:5], 0x28
	s_mov_b32 s8, 0
	s_waitcnt lgkmcnt(0)
	s_add_u32 s2, s6, s0
	s_addc_u32 s3, 0, s1
	s_ashr_i32 s21, s19, 31
	s_mov_b32 s20, s19
	s_or_b64 s[0:1], s[2:3], s[20:21]
	s_mov_b32 s9, s1
	s_cmp_lg_u64 s[8:9], 0
	s_cbranch_scc0 .LBB2_51
; %bb.1:
	s_add_u32 s0, s20, s21
	s_mov_b32 s10, s21
	s_mov_b32 s11, s21
	s_addc_u32 s1, s21, s21
	s_xor_b64 s[12:13], s[0:1], s[10:11]
	v_cvt_f32_u32_e32 v1, s12
	v_cvt_f32_u32_e32 v2, s13
	s_sub_u32 s0, 0, s12
	s_subb_u32 s1, 0, s13
	v_madmk_f32 v1, v2, 0x4f800000, v1
	v_rcp_f32_e32 v1, v1
	v_mul_f32_e32 v1, 0x5f7ffffc, v1
	v_mul_f32_e32 v2, 0x2f800000, v1
	v_trunc_f32_e32 v2, v2
	v_madmk_f32 v1, v2, 0xcf800000, v1
	v_cvt_u32_f32_e32 v2, v2
	v_cvt_u32_f32_e32 v1, v1
	v_readfirstlane_b32 s6, v2
	v_readfirstlane_b32 s14, v1
	s_mul_i32 s15, s0, s6
	s_mul_hi_u32 s22, s0, s14
	s_mul_i32 s19, s1, s14
	s_add_i32 s15, s22, s15
	s_add_i32 s15, s15, s19
	s_mul_i32 s23, s0, s14
	s_mul_hi_u32 s19, s14, s15
	s_mul_i32 s22, s14, s15
	s_mul_hi_u32 s14, s14, s23
	s_add_u32 s14, s14, s22
	s_addc_u32 s19, 0, s19
	s_mul_hi_u32 s26, s6, s23
	s_mul_i32 s23, s6, s23
	s_add_u32 s14, s14, s23
	s_mul_hi_u32 s22, s6, s15
	s_addc_u32 s14, s19, s26
	s_addc_u32 s19, s22, 0
	s_mul_i32 s15, s6, s15
	s_add_u32 s14, s14, s15
	s_addc_u32 s15, 0, s19
	v_add_co_u32_e32 v1, vcc, s14, v1
	s_cmp_lg_u64 vcc, 0
	s_addc_u32 s6, s6, s15
	v_readfirstlane_b32 s15, v1
	s_mul_i32 s14, s0, s6
	s_mul_hi_u32 s19, s0, s15
	s_add_i32 s14, s19, s14
	s_mul_i32 s1, s1, s15
	s_add_i32 s14, s14, s1
	s_mul_i32 s0, s0, s15
	s_mul_hi_u32 s19, s6, s0
	s_mul_i32 s22, s6, s0
	s_mul_i32 s26, s15, s14
	s_mul_hi_u32 s0, s15, s0
	s_mul_hi_u32 s23, s15, s14
	s_add_u32 s0, s0, s26
	s_addc_u32 s15, 0, s23
	s_add_u32 s0, s0, s22
	s_mul_hi_u32 s1, s6, s14
	s_addc_u32 s0, s15, s19
	s_addc_u32 s1, s1, 0
	s_mul_i32 s14, s6, s14
	s_add_u32 s0, s0, s14
	s_addc_u32 s1, 0, s1
	v_add_co_u32_e32 v1, vcc, s0, v1
	s_cmp_lg_u64 vcc, 0
	s_addc_u32 s6, s6, s1
	s_ashr_i32 s14, s3, 31
	s_add_u32 s0, s2, s14
	s_mov_b32 s15, s14
	s_addc_u32 s1, s3, s14
	s_xor_b64 s[22:23], s[0:1], s[14:15]
	v_readfirstlane_b32 s19, v1
	s_mul_i32 s1, s22, s6
	s_mul_hi_u32 s26, s22, s19
	s_mul_hi_u32 s0, s22, s6
	s_add_u32 s1, s26, s1
	s_addc_u32 s0, 0, s0
	s_mul_hi_u32 s27, s23, s19
	s_mul_i32 s19, s23, s19
	s_add_u32 s1, s1, s19
	s_mul_hi_u32 s26, s23, s6
	s_addc_u32 s0, s0, s27
	s_addc_u32 s1, s26, 0
	s_mul_i32 s6, s23, s6
	s_add_u32 s6, s0, s6
	s_addc_u32 s19, 0, s1
	s_mul_i32 s0, s12, s19
	s_mul_hi_u32 s1, s12, s6
	s_add_i32 s0, s1, s0
	s_mul_i32 s1, s13, s6
	s_add_i32 s26, s0, s1
	s_mul_i32 s1, s12, s6
	v_mov_b32_e32 v1, s1
	s_sub_i32 s0, s23, s26
	v_sub_co_u32_e32 v1, vcc, s22, v1
	s_cmp_lg_u64 vcc, 0
	s_subb_u32 s22, s0, s13
	v_subrev_co_u32_e64 v2, s[0:1], s12, v1
	s_cmp_lg_u64 s[0:1], 0
	s_subb_u32 s0, s22, 0
	s_cmp_ge_u32 s0, s13
	v_readfirstlane_b32 s22, v2
	s_cselect_b32 s1, -1, 0
	s_cmp_ge_u32 s22, s12
	s_cselect_b32 s22, -1, 0
	s_cmp_eq_u32 s0, s13
	s_cselect_b32 s0, s22, s1
	s_add_u32 s1, s6, 1
	s_addc_u32 s22, s19, 0
	s_add_u32 s27, s6, 2
	s_addc_u32 s28, s19, 0
	s_cmp_lg_u32 s0, 0
	s_cselect_b32 s0, s27, s1
	s_cselect_b32 s1, s28, s22
	s_cmp_lg_u64 vcc, 0
	s_subb_u32 s22, s23, s26
	s_cmp_ge_u32 s22, s13
	v_readfirstlane_b32 s26, v1
	s_cselect_b32 s23, -1, 0
	s_cmp_ge_u32 s26, s12
	s_cselect_b32 s12, -1, 0
	s_cmp_eq_u32 s22, s13
	s_cselect_b32 s12, s12, s23
	s_cmp_lg_u32 s12, 0
	s_cselect_b32 s1, s1, s19
	s_cselect_b32 s0, s0, s6
	s_xor_b64 s[10:11], s[14:15], s[10:11]
	s_xor_b64 s[0:1], s[0:1], s[10:11]
	s_sub_u32 s28, s0, s10
	s_subb_u32 s29, s1, s11
	s_cbranch_execnz .LBB2_3
.LBB2_2:
	v_cvt_f32_u32_e32 v1, s20
	s_sub_i32 s0, 0, s20
	s_mov_b32 s29, 0
	v_rcp_iflag_f32_e32 v1, v1
	v_mul_f32_e32 v1, 0x4f7ffffe, v1
	v_cvt_u32_f32_e32 v1, v1
	v_readfirstlane_b32 s1, v1
	s_mul_i32 s0, s0, s1
	s_mul_hi_u32 s0, s1, s0
	s_add_i32 s1, s1, s0
	s_mul_hi_u32 s0, s2, s1
	s_mul_i32 s6, s0, s20
	s_sub_i32 s6, s2, s6
	s_add_i32 s1, s0, 1
	s_sub_i32 s8, s6, s20
	s_cmp_ge_u32 s6, s20
	s_cselect_b32 s0, s1, s0
	s_cselect_b32 s6, s8, s6
	s_add_i32 s1, s0, 1
	s_cmp_ge_u32 s6, s20
	s_cselect_b32 s28, s1, s0
.LBB2_3:
	s_mul_i32 s0, s28, s21
	s_mul_hi_u32 s1, s28, s20
	s_add_i32 s0, s1, s0
	s_mul_i32 s1, s29, s20
	s_add_i32 s0, s0, s1
	s_mul_i32 s1, s28, s20
	s_sub_u32 s1, s2, s1
	s_subb_u32 s0, s3, s0
	s_ashr_i32 s6, s16, 31
	s_mul_i32 s8, s1, s6
	s_mul_hi_u32 s9, s1, s16
	s_add_i32 s8, s9, s8
	s_mul_i32 s0, s0, s16
	s_add_i32 s23, s8, s0
	s_mul_i32 s22, s1, s16
	s_or_b64 s[0:1], s[22:23], s[20:21]
	s_mov_b32 s0, 0
	s_cmp_lg_u64 s[0:1], 0
	s_cbranch_scc0 .LBB2_52
; %bb.4:
	s_add_u32 s0, s20, s21
	s_mov_b32 s10, s21
	s_mov_b32 s11, s21
	s_addc_u32 s1, s21, s21
	s_xor_b64 s[12:13], s[0:1], s[10:11]
	v_cvt_f32_u32_e32 v1, s12
	v_cvt_f32_u32_e32 v2, s13
	s_sub_u32 s0, 0, s12
	s_subb_u32 s1, 0, s13
	v_madmk_f32 v1, v2, 0x4f800000, v1
	v_rcp_f32_e32 v1, v1
	v_mul_f32_e32 v1, 0x5f7ffffc, v1
	v_mul_f32_e32 v2, 0x2f800000, v1
	v_trunc_f32_e32 v2, v2
	v_madmk_f32 v1, v2, 0xcf800000, v1
	v_cvt_u32_f32_e32 v2, v2
	v_cvt_u32_f32_e32 v1, v1
	v_readfirstlane_b32 s14, v2
	v_readfirstlane_b32 s15, v1
	s_mul_i32 s19, s0, s14
	s_mul_hi_u32 s27, s0, s15
	s_mul_i32 s26, s1, s15
	s_add_i32 s19, s27, s19
	s_add_i32 s19, s19, s26
	s_mul_i32 s30, s0, s15
	s_mul_hi_u32 s26, s15, s19
	s_mul_i32 s27, s15, s19
	s_mul_hi_u32 s15, s15, s30
	s_add_u32 s15, s15, s27
	s_addc_u32 s26, 0, s26
	s_mul_hi_u32 s31, s14, s30
	s_mul_i32 s30, s14, s30
	s_add_u32 s15, s15, s30
	s_mul_hi_u32 s27, s14, s19
	s_addc_u32 s15, s26, s31
	s_addc_u32 s26, s27, 0
	s_mul_i32 s19, s14, s19
	s_add_u32 s15, s15, s19
	s_addc_u32 s19, 0, s26
	v_add_co_u32_e32 v1, vcc, s15, v1
	s_cmp_lg_u64 vcc, 0
	s_addc_u32 s14, s14, s19
	v_readfirstlane_b32 s19, v1
	s_mul_i32 s15, s0, s14
	s_mul_hi_u32 s26, s0, s19
	s_add_i32 s15, s26, s15
	s_mul_i32 s1, s1, s19
	s_add_i32 s15, s15, s1
	s_mul_i32 s0, s0, s19
	s_mul_hi_u32 s26, s14, s0
	s_mul_i32 s27, s14, s0
	s_mul_i32 s31, s19, s15
	s_mul_hi_u32 s0, s19, s0
	s_mul_hi_u32 s30, s19, s15
	s_add_u32 s0, s0, s31
	s_addc_u32 s19, 0, s30
	s_add_u32 s0, s0, s27
	s_mul_hi_u32 s1, s14, s15
	s_addc_u32 s0, s19, s26
	s_addc_u32 s1, s1, 0
	s_mul_i32 s15, s14, s15
	s_add_u32 s0, s0, s15
	s_addc_u32 s1, 0, s1
	v_add_co_u32_e32 v1, vcc, s0, v1
	s_cmp_lg_u64 vcc, 0
	s_addc_u32 s19, s14, s1
	s_ashr_i32 s14, s23, 31
	s_add_u32 s0, s22, s14
	s_mov_b32 s15, s14
	s_addc_u32 s1, s23, s14
	s_xor_b64 s[26:27], s[0:1], s[14:15]
	v_readfirstlane_b32 s30, v1
	s_mul_i32 s1, s26, s19
	s_mul_hi_u32 s31, s26, s30
	s_mul_hi_u32 s0, s26, s19
	s_add_u32 s1, s31, s1
	s_addc_u32 s0, 0, s0
	s_mul_hi_u32 s33, s27, s30
	s_mul_i32 s30, s27, s30
	s_add_u32 s1, s1, s30
	s_mul_hi_u32 s31, s27, s19
	s_addc_u32 s0, s0, s33
	s_addc_u32 s1, s31, 0
	s_mul_i32 s19, s27, s19
	s_add_u32 s19, s0, s19
	s_addc_u32 s30, 0, s1
	s_mul_i32 s0, s12, s30
	s_mul_hi_u32 s1, s12, s19
	s_add_i32 s0, s1, s0
	s_mul_i32 s1, s13, s19
	s_add_i32 s31, s0, s1
	s_mul_i32 s1, s12, s19
	v_mov_b32_e32 v1, s1
	s_sub_i32 s0, s27, s31
	v_sub_co_u32_e32 v1, vcc, s26, v1
	s_cmp_lg_u64 vcc, 0
	s_subb_u32 s26, s0, s13
	v_subrev_co_u32_e64 v2, s[0:1], s12, v1
	s_cmp_lg_u64 s[0:1], 0
	s_subb_u32 s0, s26, 0
	s_cmp_ge_u32 s0, s13
	v_readfirstlane_b32 s26, v2
	s_cselect_b32 s1, -1, 0
	s_cmp_ge_u32 s26, s12
	s_cselect_b32 s26, -1, 0
	s_cmp_eq_u32 s0, s13
	s_cselect_b32 s0, s26, s1
	s_add_u32 s1, s19, 1
	s_addc_u32 s26, s30, 0
	s_add_u32 s33, s19, 2
	s_addc_u32 s34, s30, 0
	s_cmp_lg_u32 s0, 0
	s_cselect_b32 s0, s33, s1
	s_cselect_b32 s1, s34, s26
	s_cmp_lg_u64 vcc, 0
	s_subb_u32 s26, s27, s31
	s_cmp_ge_u32 s26, s13
	v_readfirstlane_b32 s31, v1
	s_cselect_b32 s27, -1, 0
	s_cmp_ge_u32 s31, s12
	s_cselect_b32 s12, -1, 0
	s_cmp_eq_u32 s26, s13
	s_cselect_b32 s12, s12, s27
	s_cmp_lg_u32 s12, 0
	s_cselect_b32 s1, s1, s30
	s_cselect_b32 s0, s0, s19
	s_xor_b64 s[10:11], s[14:15], s[10:11]
	s_xor_b64 s[0:1], s[0:1], s[10:11]
	s_sub_u32 s26, s0, s10
	s_subb_u32 s27, s1, s11
	s_load_dword s36, s[4:5], 0x64
	s_cbranch_execnz .LBB2_6
.LBB2_5:
	v_cvt_f32_u32_e32 v1, s20
	s_sub_i32 s0, 0, s20
	s_mov_b32 s27, 0
	v_rcp_iflag_f32_e32 v1, v1
	v_mul_f32_e32 v1, 0x4f7ffffe, v1
	v_cvt_u32_f32_e32 v1, v1
	v_readfirstlane_b32 s1, v1
	s_mul_i32 s0, s0, s1
	s_mul_hi_u32 s0, s1, s0
	s_add_i32 s1, s1, s0
	s_mul_hi_u32 s0, s22, s1
	s_mul_i32 s8, s0, s20
	s_sub_i32 s8, s22, s8
	s_add_i32 s1, s0, 1
	s_sub_i32 s9, s8, s20
	s_cmp_ge_u32 s8, s20
	s_cselect_b32 s0, s1, s0
	s_cselect_b32 s8, s9, s8
	s_add_i32 s1, s0, 1
	s_cmp_ge_u32 s8, s20
	s_cselect_b32 s26, s1, s0
.LBB2_6:
	s_waitcnt lgkmcnt(0)
	s_lshr_b32 s37, s36, 16
	s_mul_i32 s7, s7, s37
	v_bfe_u32 v1, v0, 10, 10
	v_add_u32_e32 v2, s7, v1
	v_cmp_gt_i32_e32 vcc, s24, v2
	s_and_saveexec_b64 s[0:1], vcc
	s_cbranch_execz .LBB2_50
; %bb.7:
	s_add_u32 s0, s22, s16
	s_addc_u32 s1, s23, s6
	s_load_dwordx8 s[8:15], s[4:5], 0x30
	s_add_u32 s6, s0, -1
	s_addc_u32 s7, s1, -1
	s_or_b64 s[0:1], s[6:7], s[20:21]
	s_mov_b32 s0, 0
	s_cmp_lg_u64 s[0:1], 0
	s_mov_b64 s[22:23], -1
	s_cbranch_scc0 .LBB2_53
; %bb.8:
	s_add_u32 s0, s20, s21
	s_mov_b32 s30, s21
	s_mov_b32 s31, s21
	s_addc_u32 s1, s21, s21
	s_xor_b64 s[34:35], s[0:1], s[30:31]
	v_cvt_f32_u32_e32 v1, s34
	v_cvt_f32_u32_e32 v3, s35
	s_sub_u32 s0, 0, s34
	s_subb_u32 s1, 0, s35
	v_madmk_f32 v1, v3, 0x4f800000, v1
	v_rcp_f32_e32 v1, v1
	v_mul_f32_e32 v1, 0x5f7ffffc, v1
	v_mul_f32_e32 v3, 0x2f800000, v1
	v_trunc_f32_e32 v3, v3
	v_madmk_f32 v1, v3, 0xcf800000, v1
	v_cvt_u32_f32_e32 v3, v3
	v_cvt_u32_f32_e32 v1, v1
	v_readfirstlane_b32 s16, v3
	v_readfirstlane_b32 s19, v1
	s_mul_i32 s21, s0, s16
	s_mul_hi_u32 s38, s0, s19
	s_mul_i32 s33, s1, s19
	s_add_i32 s21, s38, s21
	s_add_i32 s21, s21, s33
	s_mul_i32 s39, s0, s19
	s_mul_hi_u32 s33, s19, s21
	s_mul_i32 s38, s19, s21
	s_mul_hi_u32 s19, s19, s39
	s_add_u32 s19, s19, s38
	s_addc_u32 s33, 0, s33
	s_mul_hi_u32 s40, s16, s39
	s_mul_i32 s39, s16, s39
	s_add_u32 s19, s19, s39
	s_mul_hi_u32 s38, s16, s21
	s_addc_u32 s19, s33, s40
	s_addc_u32 s33, s38, 0
	s_mul_i32 s21, s16, s21
	s_add_u32 s19, s19, s21
	s_addc_u32 s21, 0, s33
	v_add_co_u32_e32 v1, vcc, s19, v1
	s_cmp_lg_u64 vcc, 0
	s_addc_u32 s16, s16, s21
	v_readfirstlane_b32 s21, v1
	s_mul_i32 s19, s0, s16
	s_mul_hi_u32 s33, s0, s21
	s_add_i32 s19, s33, s19
	s_mul_i32 s1, s1, s21
	s_add_i32 s19, s19, s1
	s_mul_i32 s0, s0, s21
	s_mul_hi_u32 s33, s16, s0
	s_mul_i32 s38, s16, s0
	s_mul_i32 s40, s21, s19
	s_mul_hi_u32 s0, s21, s0
	s_mul_hi_u32 s39, s21, s19
	s_add_u32 s0, s0, s40
	s_addc_u32 s21, 0, s39
	s_add_u32 s0, s0, s38
	s_mul_hi_u32 s1, s16, s19
	s_addc_u32 s0, s21, s33
	s_addc_u32 s1, s1, 0
	s_mul_i32 s19, s16, s19
	s_add_u32 s0, s0, s19
	s_addc_u32 s1, 0, s1
	v_add_co_u32_e32 v1, vcc, s0, v1
	s_cmp_lg_u64 vcc, 0
	s_addc_u32 s16, s16, s1
	s_ashr_i32 s38, s7, 31
	s_add_u32 s0, s6, s38
	s_mov_b32 s39, s38
	s_addc_u32 s1, s7, s38
	s_xor_b64 s[40:41], s[0:1], s[38:39]
	v_readfirstlane_b32 s7, v1
	s_mul_i32 s1, s40, s16
	s_mul_hi_u32 s19, s40, s7
	s_mul_hi_u32 s0, s40, s16
	s_add_u32 s1, s19, s1
	s_addc_u32 s0, 0, s0
	s_mul_hi_u32 s21, s41, s7
	s_mul_i32 s7, s41, s7
	s_add_u32 s1, s1, s7
	s_mul_hi_u32 s19, s41, s16
	s_addc_u32 s0, s0, s21
	s_addc_u32 s1, s19, 0
	s_mul_i32 s7, s41, s16
	s_add_u32 s7, s0, s7
	s_addc_u32 s0, 0, s1
	s_mul_i32 s0, s34, s0
	s_mul_hi_u32 s1, s34, s7
	s_add_i32 s0, s1, s0
	s_mul_i32 s1, s35, s7
	s_add_i32 s16, s0, s1
	s_mul_i32 s1, s34, s7
	v_mov_b32_e32 v1, s1
	s_sub_i32 s0, s41, s16
	v_sub_co_u32_e32 v1, vcc, s40, v1
	s_cmp_lg_u64 vcc, 0
	s_subb_u32 s19, s0, s35
	v_subrev_co_u32_e64 v3, s[0:1], s34, v1
	s_cmp_lg_u64 s[0:1], 0
	s_subb_u32 s19, s19, 0
	s_cmp_ge_u32 s19, s35
	s_cselect_b32 s21, -1, 0
	v_cmp_le_u32_e64 s[0:1], s34, v3
	s_cmp_eq_u32 s19, s35
	v_cndmask_b32_e64 v3, 0, -1, s[0:1]
	v_mov_b32_e32 v4, s21
	s_cselect_b64 s[0:1], -1, 0
	v_cndmask_b32_e64 v3, v4, v3, s[0:1]
	s_add_u32 s0, s7, 1
	s_add_u32 s1, s7, 2
	v_mov_b32_e32 v4, s0
	v_mov_b32_e32 v5, s1
	v_cmp_ne_u32_e64 s[0:1], 0, v3
	s_cmp_lg_u64 vcc, 0
	v_cndmask_b32_e64 v3, v4, v5, s[0:1]
	s_subb_u32 s0, s41, s16
	s_cmp_ge_u32 s0, s35
	s_cselect_b32 s1, -1, 0
	v_cmp_le_u32_e32 vcc, s34, v1
	s_cmp_eq_u32 s0, s35
	v_cndmask_b32_e64 v1, 0, -1, vcc
	v_mov_b32_e32 v4, s1
	s_cselect_b64 vcc, -1, 0
	v_cndmask_b32_e32 v1, v4, v1, vcc
	v_mov_b32_e32 v4, s7
	v_cmp_ne_u32_e32 vcc, 0, v1
	v_cndmask_b32_e32 v1, v4, v3, vcc
	s_xor_b64 s[0:1], s[38:39], s[30:31]
	v_xor_b32_e32 v1, s0, v1
	v_subrev_co_u32_e32 v4, vcc, s0, v1
	s_load_dword s48, s[4:5], 0x5c
	s_cbranch_execnz .LBB2_10
.LBB2_9:
	v_cvt_f32_u32_e32 v1, s20
	s_sub_i32 s0, 0, s20
	v_rcp_iflag_f32_e32 v1, v1
	v_mul_f32_e32 v1, 0x4f7ffffe, v1
	v_cvt_u32_f32_e32 v1, v1
	v_mul_lo_u32 v3, s0, v1
	v_mul_hi_u32 v3, v1, v3
	v_add_u32_e32 v1, v1, v3
	v_mul_hi_u32 v1, s6, v1
	v_mul_lo_u32 v4, v1, s20
	v_sub_u32_e32 v4, s6, v4
	v_add_u32_e32 v3, 1, v1
	v_subrev_u32_e32 v5, s20, v4
	v_cmp_le_u32_e32 vcc, s20, v4
	v_cndmask_b32_e32 v4, v4, v5, vcc
	v_cndmask_b32_e32 v1, v1, v3, vcc
	v_add_u32_e32 v3, 1, v1
	v_cmp_le_u32_e32 vcc, s20, v4
	v_cndmask_b32_e32 v4, v1, v3, vcc
.LBB2_10:
	s_bfe_i64 s[6:7], s[26:27], 0x200000
	s_load_dwordx4 s[20:23], s[4:5], 0x0
	s_load_dwordx2 s[0:1], s[4:5], 0x10
	s_bfe_i64 s[4:5], s[28:29], 0x200000
	s_mul_i32 s6, s25, s24
	s_mul_hi_i32 s4, s25, s24
	s_mul_i32 s3, s6, s3
	s_mul_hi_u32 s29, s6, s2
	s_add_i32 s3, s29, s3
	s_mul_i32 s4, s4, s2
	s_add_i32 s3, s3, s4
	s_mul_i32 s2, s6, s2
	s_ashr_i32 s16, s24, 31
	s_ashr_i32 s27, s25, 31
	s_lshl_b64 s[30:31], s[2:3], 1
	s_waitcnt lgkmcnt(0)
	s_add_u32 s44, s22, s30
	s_addc_u32 s45, s23, s31
	s_lshl_b64 s[2:3], s[2:3], 3
	s_mov_b32 s19, s24
	s_add_u32 s46, s0, s2
	v_and_b32_e32 v18, 0x3ff, v0
	v_subrev_u32_e32 v0, s26, v4
	s_brev_b32 s2, -2
	s_addc_u32 s47, s1, s3
	v_add_u32_e32 v1, 1, v0
	v_cmp_gt_u32_e64 s[2:3], s2, v0
	v_cvt_f32_u32_e32 v0, s19
	s_mul_hi_u32 s4, s10, s26
	s_mul_i32 s6, s10, s7
	s_add_i32 s4, s4, s6
	s_mul_i32 s6, s11, s26
	v_rcp_iflag_f32_e32 v0, v0
	s_add_i32 s7, s4, s6
	s_mul_hi_u32 s4, s8, s28
	s_mul_i32 s5, s8, s5
	s_add_i32 s4, s4, s5
	s_mul_i32 s5, s9, s28
	s_mul_i32 s6, s10, s26
	s_add_i32 s5, s4, s5
	s_mul_i32 s4, s8, s28
	s_and_b32 s49, s36, 0xffff
	s_ashr_i32 s50, s17, 31
	s_ashr_i32 s52, s18, 31
	s_lshl_b64 s[6:7], s[6:7], 1
	s_lshl_b64 s[4:5], s[4:5], 1
	v_mul_f32_e32 v0, 0x4f7ffffe, v0
	s_add_u32 s4, s6, s4
	v_cvt_u32_f32_e32 v20, v0
	s_addc_u32 s5, s7, s5
	s_add_u32 s20, s20, s4
	s_mov_b32 s33, s25
	s_mul_i32 s48, s48, s37
	s_mov_b32 s51, s17
	v_cmp_gt_i32_e64 s[0:1], s25, v18
	s_mul_i32 s53, s26, s17
	v_max_i32_e32 v19, 1, v1
	s_addc_u32 s21, s21, s5
	s_lshl_b64 s[12:13], s[12:13], 1
	s_lshl_b64 s[14:15], s[14:15], 1
	;; [unrolled: 1-line block ×3, first 2 shown]
	s_mul_i32 s54, s18, s17
	s_mov_b64 s[28:29], 0
	v_mov_b32_e32 v1, 0
	s_branch .LBB2_12
.LBB2_11:                               ;   in Loop: Header=BB2_12 Depth=1
	s_or_b64 exec, exec, s[30:31]
	v_add_u32_e32 v2, s48, v2
	v_cmp_le_i32_e32 vcc, s24, v2
	s_or_b64 s[28:29], vcc, s[28:29]
	s_andn2_b64 exec, exec, s[28:29]
	s_cbranch_execz .LBB2_50
.LBB2_12:                               ; =>This Loop Header: Depth=1
                                        ;     Child Loop BB2_27 Depth 2
                                        ;       Child Loop BB2_43 Depth 3
                                        ;         Child Loop BB2_46 Depth 4
                                        ;           Child Loop BB2_48 Depth 5
	v_ashrrev_i32_e32 v3, 31, v2
	v_or_b32_e32 v5, s16, v3
	v_mov_b32_e32 v4, v1
	v_cmp_ne_u64_e32 vcc, 0, v[4:5]
                                        ; implicit-def: $vgpr6_vgpr7
	s_and_saveexec_b64 s[4:5], vcc
	s_xor_b64 s[4:5], exec, s[4:5]
	s_cbranch_execz .LBB2_14
; %bb.13:                               ;   in Loop: Header=BB2_12 Depth=1
	s_ashr_i32 s6, s19, 31
	s_add_i32 s7, s19, s6
	s_xor_b32 s7, s7, s6
	v_cvt_f32_u32_e32 v0, s7
	s_sub_i32 s8, 0, s7
	v_ashrrev_i32_e32 v4, 31, v2
	v_add_u32_e32 v5, v2, v4
	v_rcp_iflag_f32_e32 v0, v0
	v_xor_b32_e32 v5, v5, v4
	v_xor_b32_e32 v4, s6, v4
	v_mul_f32_e32 v0, 0x4f7ffffe, v0
	v_cvt_u32_f32_e32 v0, v0
	v_mul_lo_u32 v6, s8, v0
	v_mul_hi_u32 v6, v0, v6
	v_add_u32_e32 v0, v0, v6
	v_mul_hi_u32 v0, v5, v0
	v_mul_lo_u32 v6, v0, s7
	v_sub_u32_e32 v5, v5, v6
	v_add_u32_e32 v7, 1, v0
	v_subrev_u32_e32 v6, s7, v5
	v_cmp_le_u32_e32 vcc, s7, v5
	v_cndmask_b32_e32 v5, v5, v6, vcc
	v_cndmask_b32_e32 v0, v0, v7, vcc
	v_add_u32_e32 v6, 1, v0
	v_cmp_le_u32_e32 vcc, s7, v5
	v_cndmask_b32_e32 v0, v0, v6, vcc
	v_xor_b32_e32 v0, v0, v4
	v_sub_u32_e32 v6, v0, v4
	v_ashrrev_i32_e32 v7, 31, v6
.LBB2_14:                               ;   in Loop: Header=BB2_12 Depth=1
	s_andn2_saveexec_b64 s[4:5], s[4:5]
	s_cbranch_execz .LBB2_16
; %bb.15:                               ;   in Loop: Header=BB2_12 Depth=1
	s_sub_i32 s6, 0, s19
	v_mul_lo_u32 v0, s6, v20
	v_mul_hi_u32 v0, v20, v0
	v_add_u32_e32 v0, v20, v0
	v_mul_hi_u32 v0, v2, v0
	v_mul_lo_u32 v4, v0, s19
	v_sub_u32_e32 v4, v2, v4
	v_subrev_u32_e32 v5, s19, v4
	v_cmp_le_u32_e32 vcc, s19, v4
	v_cndmask_b32_e32 v4, v4, v5, vcc
	v_add_u32_e32 v5, 1, v0
	v_cndmask_b32_e32 v0, v0, v5, vcc
	v_add_u32_e32 v5, 1, v0
	v_cmp_le_u32_e32 vcc, s19, v4
	v_cndmask_b32_e32 v0, v0, v5, vcc
	v_pk_mov_b32 v[6:7], v[0:1], v[0:1] op_sel:[0,1]
.LBB2_16:                               ;   in Loop: Header=BB2_12 Depth=1
	s_or_b64 exec, exec, s[4:5]
	v_mul_lo_u32 v0, v7, s19
	v_mul_lo_u32 v7, v6, s16
	v_mad_u64_u32 v[4:5], s[4:5], v6, s19, 0
	v_add3_u32 v0, v5, v7, v0
	v_sub_co_u32_e32 v4, vcc, v2, v4
	v_subb_co_u32_e32 v0, vcc, v3, v0, vcc
	v_mul_lo_u32 v0, v0, s51
	v_mul_lo_u32 v7, v4, s50
	v_mad_u64_u32 v[4:5], s[4:5], v4, s51, 0
	v_add3_u32 v5, v5, v7, v0
	v_or_b32_e32 v9, s16, v5
	v_mov_b32_e32 v8, v1
	v_cmp_ne_u64_e32 vcc, 0, v[8:9]
                                        ; implicit-def: $vgpr8_vgpr9
	s_and_saveexec_b64 s[4:5], vcc
	s_xor_b64 s[6:7], exec, s[4:5]
	s_cbranch_execz .LBB2_18
; %bb.17:                               ;   in Loop: Header=BB2_12 Depth=1
	s_add_u32 s4, s19, s16
	s_mov_b32 s8, s16
	s_mov_b32 s9, s16
	s_addc_u32 s5, s16, s16
	s_xor_b64 s[10:11], s[4:5], s[8:9]
	v_cvt_f32_u32_e32 v0, s10
	v_cvt_f32_u32_e32 v7, s11
	s_sub_u32 s4, 0, s10
	s_subb_u32 s5, 0, s11
	v_mac_f32_e32 v0, 0x4f800000, v7
	v_rcp_f32_e32 v0, v0
	v_mul_f32_e32 v0, 0x5f7ffffc, v0
	v_mul_f32_e32 v7, 0x2f800000, v0
	v_trunc_f32_e32 v7, v7
	v_mac_f32_e32 v0, 0xcf800000, v7
	v_cvt_u32_f32_e32 v7, v7
	v_cvt_u32_f32_e32 v0, v0
	v_mul_lo_u32 v8, s4, v7
	v_mul_hi_u32 v10, s4, v0
	v_mul_lo_u32 v9, s5, v0
	v_add_u32_e32 v8, v10, v8
	v_mul_lo_u32 v11, s4, v0
	v_add_u32_e32 v8, v8, v9
	v_mul_lo_u32 v10, v0, v8
	v_mul_hi_u32 v12, v0, v11
	v_mul_hi_u32 v9, v0, v8
	v_add_co_u32_e32 v10, vcc, v12, v10
	v_addc_co_u32_e32 v9, vcc, 0, v9, vcc
	v_mul_hi_u32 v13, v7, v11
	v_mul_lo_u32 v11, v7, v11
	v_add_co_u32_e32 v10, vcc, v10, v11
	v_mul_hi_u32 v12, v7, v8
	v_addc_co_u32_e32 v9, vcc, v9, v13, vcc
	v_addc_co_u32_e32 v10, vcc, 0, v12, vcc
	v_mul_lo_u32 v8, v7, v8
	v_add_co_u32_e32 v8, vcc, v9, v8
	v_addc_co_u32_e32 v9, vcc, 0, v10, vcc
	v_add_co_u32_e32 v0, vcc, v0, v8
	v_addc_co_u32_e32 v7, vcc, v7, v9, vcc
	v_mul_lo_u32 v8, s4, v7
	v_mul_hi_u32 v9, s4, v0
	v_add_u32_e32 v8, v9, v8
	v_mul_lo_u32 v9, s5, v0
	v_add_u32_e32 v8, v8, v9
	v_mul_lo_u32 v10, s4, v0
	v_mul_hi_u32 v11, v7, v10
	v_mul_lo_u32 v12, v7, v10
	v_mul_lo_u32 v14, v0, v8
	v_mul_hi_u32 v10, v0, v10
	v_mul_hi_u32 v13, v0, v8
	v_add_co_u32_e32 v10, vcc, v10, v14
	v_addc_co_u32_e32 v13, vcc, 0, v13, vcc
	v_add_co_u32_e32 v10, vcc, v10, v12
	v_mul_hi_u32 v9, v7, v8
	v_addc_co_u32_e32 v10, vcc, v13, v11, vcc
	v_addc_co_u32_e32 v9, vcc, 0, v9, vcc
	v_mul_lo_u32 v8, v7, v8
	v_add_co_u32_e32 v8, vcc, v10, v8
	v_addc_co_u32_e32 v9, vcc, 0, v9, vcc
	v_add_co_u32_e32 v0, vcc, v0, v8
	v_addc_co_u32_e32 v7, vcc, v7, v9, vcc
	v_ashrrev_i32_e32 v10, 31, v5
	v_add_co_u32_e32 v4, vcc, v4, v10
	v_addc_co_u32_e32 v5, vcc, v5, v10, vcc
	v_xor_b32_e32 v12, v4, v10
	v_xor_b32_e32 v11, v5, v10
	v_mad_u64_u32 v[4:5], s[4:5], v12, v7, 0
	v_mul_hi_u32 v8, v12, v0
	v_add_co_u32_e32 v13, vcc, v8, v4
	v_addc_co_u32_e32 v14, vcc, 0, v5, vcc
	v_mad_u64_u32 v[8:9], s[4:5], v11, v0, 0
	v_add_co_u32_e32 v0, vcc, v13, v8
	v_mad_u64_u32 v[4:5], s[4:5], v11, v7, 0
	v_addc_co_u32_e32 v0, vcc, v14, v9, vcc
	v_addc_co_u32_e32 v5, vcc, 0, v5, vcc
	v_add_co_u32_e32 v0, vcc, v0, v4
	v_addc_co_u32_e32 v7, vcc, 0, v5, vcc
	v_mul_lo_u32 v8, s11, v0
	v_mul_lo_u32 v9, s10, v7
	v_mad_u64_u32 v[4:5], s[4:5], s10, v0, 0
	v_add3_u32 v5, v5, v9, v8
	v_sub_u32_e32 v8, v11, v5
	v_mov_b32_e32 v9, s11
	v_sub_co_u32_e32 v4, vcc, v12, v4
	v_subb_co_u32_e64 v8, s[4:5], v8, v9, vcc
	v_subrev_co_u32_e64 v9, s[4:5], s10, v4
	v_subbrev_co_u32_e64 v8, s[4:5], 0, v8, s[4:5]
	v_cmp_le_u32_e64 s[4:5], s11, v8
	v_cndmask_b32_e64 v12, 0, -1, s[4:5]
	v_cmp_le_u32_e64 s[4:5], s10, v9
	v_cndmask_b32_e64 v9, 0, -1, s[4:5]
	v_cmp_eq_u32_e64 s[4:5], s11, v8
	v_cndmask_b32_e64 v8, v12, v9, s[4:5]
	v_add_co_u32_e64 v9, s[4:5], 2, v0
	v_subb_co_u32_e32 v5, vcc, v11, v5, vcc
	v_addc_co_u32_e64 v12, s[4:5], 0, v7, s[4:5]
	v_cmp_le_u32_e32 vcc, s11, v5
	v_add_co_u32_e64 v13, s[4:5], 1, v0
	v_cndmask_b32_e64 v11, 0, -1, vcc
	v_cmp_le_u32_e32 vcc, s10, v4
	v_addc_co_u32_e64 v14, s[4:5], 0, v7, s[4:5]
	v_cndmask_b32_e64 v4, 0, -1, vcc
	v_cmp_eq_u32_e32 vcc, s11, v5
	v_cmp_ne_u32_e64 s[4:5], 0, v8
	v_cndmask_b32_e32 v4, v11, v4, vcc
	v_cndmask_b32_e64 v8, v14, v12, s[4:5]
	v_cmp_ne_u32_e32 vcc, 0, v4
	v_cndmask_b32_e64 v5, v13, v9, s[4:5]
	v_cndmask_b32_e32 v4, v7, v8, vcc
	v_cndmask_b32_e32 v0, v0, v5, vcc
	v_xor_b32_e32 v7, s8, v10
	v_xor_b32_e32 v5, s9, v10
	;; [unrolled: 1-line block ×4, first 2 shown]
	v_sub_co_u32_e32 v8, vcc, v0, v7
	v_subb_co_u32_e32 v9, vcc, v4, v5, vcc
                                        ; implicit-def: $vgpr4_vgpr5
.LBB2_18:                               ;   in Loop: Header=BB2_12 Depth=1
	s_andn2_saveexec_b64 s[4:5], s[6:7]
	s_cbranch_execz .LBB2_20
; %bb.19:                               ;   in Loop: Header=BB2_12 Depth=1
	s_sub_i32 s6, 0, s19
	v_mul_lo_u32 v0, s6, v20
	v_mul_hi_u32 v0, v20, v0
	v_add_u32_e32 v0, v20, v0
	v_mul_hi_u32 v0, v4, v0
	v_mul_lo_u32 v5, v0, s19
	v_sub_u32_e32 v4, v4, v5
	v_subrev_u32_e32 v5, s19, v4
	v_cmp_le_u32_e32 vcc, s19, v4
	v_cndmask_b32_e32 v4, v4, v5, vcc
	v_add_u32_e32 v5, 1, v0
	v_cndmask_b32_e32 v0, v0, v5, vcc
	v_add_u32_e32 v5, 1, v0
	v_cmp_le_u32_e32 vcc, s19, v4
	v_cndmask_b32_e32 v0, v0, v5, vcc
	v_pk_mov_b32 v[8:9], v[0:1], v[0:1] op_sel:[0,1]
.LBB2_20:                               ;   in Loop: Header=BB2_12 Depth=1
	s_or_b64 exec, exec, s[4:5]
	v_add_co_u32_e32 v0, vcc, 1, v2
	v_addc_co_u32_e32 v3, vcc, 0, v3, vcc
	v_mul_lo_u32 v7, v0, s50
	v_mul_lo_u32 v3, v3, s51
	v_mad_u64_u32 v[4:5], s[4:5], v0, s51, -1
	v_add3_u32 v5, v3, v5, v7
	v_or_b32_e32 v11, s16, v5
	v_mov_b32_e32 v10, v1
	v_cmp_ne_u64_e32 vcc, 0, v[10:11]
                                        ; implicit-def: $vgpr10_vgpr11
	s_and_saveexec_b64 s[4:5], vcc
	s_xor_b64 s[6:7], exec, s[4:5]
	s_cbranch_execnz .LBB2_23
; %bb.21:                               ;   in Loop: Header=BB2_12 Depth=1
	s_andn2_saveexec_b64 s[4:5], s[6:7]
	s_cbranch_execnz .LBB2_24
.LBB2_22:                               ;   in Loop: Header=BB2_12 Depth=1
	s_or_b64 exec, exec, s[4:5]
	s_and_saveexec_b64 s[30:31], s[0:1]
	s_cbranch_execz .LBB2_11
	s_branch .LBB2_25
.LBB2_23:                               ;   in Loop: Header=BB2_12 Depth=1
	s_add_u32 s4, s19, s16
	s_mov_b32 s8, s16
	s_mov_b32 s9, s16
	s_addc_u32 s5, s16, s16
	s_xor_b64 s[10:11], s[4:5], s[8:9]
	v_cvt_f32_u32_e32 v0, s10
	v_cvt_f32_u32_e32 v3, s11
	s_sub_u32 s4, 0, s10
	s_subb_u32 s5, 0, s11
	v_mac_f32_e32 v0, 0x4f800000, v3
	v_rcp_f32_e32 v0, v0
	v_mul_f32_e32 v0, 0x5f7ffffc, v0
	v_mul_f32_e32 v3, 0x2f800000, v0
	v_trunc_f32_e32 v3, v3
	v_mac_f32_e32 v0, 0xcf800000, v3
	v_cvt_u32_f32_e32 v3, v3
	v_cvt_u32_f32_e32 v0, v0
	v_mul_lo_u32 v7, s4, v3
	v_mul_hi_u32 v11, s4, v0
	v_mul_lo_u32 v10, s5, v0
	v_add_u32_e32 v7, v11, v7
	v_mul_lo_u32 v12, s4, v0
	v_add_u32_e32 v7, v7, v10
	v_mul_lo_u32 v11, v0, v7
	v_mul_hi_u32 v13, v0, v12
	v_mul_hi_u32 v10, v0, v7
	v_add_co_u32_e32 v11, vcc, v13, v11
	v_addc_co_u32_e32 v10, vcc, 0, v10, vcc
	v_mul_hi_u32 v14, v3, v12
	v_mul_lo_u32 v12, v3, v12
	v_add_co_u32_e32 v11, vcc, v11, v12
	v_mul_hi_u32 v13, v3, v7
	v_addc_co_u32_e32 v10, vcc, v10, v14, vcc
	v_addc_co_u32_e32 v11, vcc, 0, v13, vcc
	v_mul_lo_u32 v7, v3, v7
	v_add_co_u32_e32 v7, vcc, v10, v7
	v_addc_co_u32_e32 v10, vcc, 0, v11, vcc
	v_add_co_u32_e32 v0, vcc, v0, v7
	v_addc_co_u32_e32 v3, vcc, v3, v10, vcc
	v_mul_lo_u32 v7, s4, v3
	v_mul_hi_u32 v10, s4, v0
	v_add_u32_e32 v7, v10, v7
	v_mul_lo_u32 v10, s5, v0
	v_add_u32_e32 v7, v7, v10
	v_mul_lo_u32 v11, s4, v0
	v_mul_hi_u32 v12, v3, v11
	v_mul_lo_u32 v13, v3, v11
	v_mul_lo_u32 v15, v0, v7
	v_mul_hi_u32 v11, v0, v11
	v_mul_hi_u32 v14, v0, v7
	v_add_co_u32_e32 v11, vcc, v11, v15
	v_addc_co_u32_e32 v14, vcc, 0, v14, vcc
	v_add_co_u32_e32 v11, vcc, v11, v13
	v_mul_hi_u32 v10, v3, v7
	v_addc_co_u32_e32 v11, vcc, v14, v12, vcc
	v_addc_co_u32_e32 v10, vcc, 0, v10, vcc
	v_mul_lo_u32 v7, v3, v7
	v_add_co_u32_e32 v7, vcc, v11, v7
	v_addc_co_u32_e32 v10, vcc, 0, v10, vcc
	v_add_co_u32_e32 v0, vcc, v0, v7
	v_addc_co_u32_e32 v3, vcc, v3, v10, vcc
	v_ashrrev_i32_e32 v7, 31, v5
	v_add_co_u32_e32 v4, vcc, v4, v7
	v_addc_co_u32_e32 v5, vcc, v5, v7, vcc
	v_xor_b32_e32 v13, v4, v7
	v_xor_b32_e32 v12, v5, v7
	v_mad_u64_u32 v[4:5], s[4:5], v13, v3, 0
	v_mul_hi_u32 v10, v13, v0
	v_add_co_u32_e32 v14, vcc, v10, v4
	v_addc_co_u32_e32 v15, vcc, 0, v5, vcc
	v_mad_u64_u32 v[10:11], s[4:5], v12, v0, 0
	v_add_co_u32_e32 v0, vcc, v14, v10
	v_mad_u64_u32 v[4:5], s[4:5], v12, v3, 0
	v_addc_co_u32_e32 v0, vcc, v15, v11, vcc
	v_addc_co_u32_e32 v3, vcc, 0, v5, vcc
	v_add_co_u32_e32 v0, vcc, v0, v4
	v_addc_co_u32_e32 v3, vcc, 0, v3, vcc
	v_mul_lo_u32 v10, s11, v0
	v_mul_lo_u32 v3, s10, v3
	v_mad_u64_u32 v[4:5], s[4:5], s10, v0, 0
	v_add3_u32 v3, v5, v3, v10
	v_sub_u32_e32 v5, v12, v3
	v_mov_b32_e32 v10, s11
	v_sub_co_u32_e32 v4, vcc, v13, v4
	v_subb_co_u32_e64 v5, s[4:5], v5, v10, vcc
	v_subrev_co_u32_e64 v10, s[4:5], s10, v4
	v_subbrev_co_u32_e64 v5, s[4:5], 0, v5, s[4:5]
	v_cmp_le_u32_e64 s[4:5], s11, v5
	v_subb_co_u32_e32 v3, vcc, v12, v3, vcc
	v_cndmask_b32_e64 v11, 0, -1, s[4:5]
	v_cmp_le_u32_e64 s[4:5], s10, v10
	v_cmp_le_u32_e32 vcc, s11, v3
	v_cndmask_b32_e64 v10, 0, -1, s[4:5]
	v_cmp_eq_u32_e64 s[4:5], s11, v5
	v_cndmask_b32_e64 v12, 0, -1, vcc
	v_cmp_le_u32_e32 vcc, s10, v4
	v_cndmask_b32_e64 v5, v11, v10, s[4:5]
	v_cndmask_b32_e64 v4, 0, -1, vcc
	v_cmp_eq_u32_e32 vcc, s11, v3
	v_add_co_u32_e64 v10, s[4:5], 2, v0
	v_add_co_u32_e64 v11, s[4:5], 1, v0
	v_cndmask_b32_e32 v3, v12, v4, vcc
	v_cmp_ne_u32_e32 vcc, 0, v5
	v_cndmask_b32_e32 v4, v11, v10, vcc
	v_cmp_ne_u32_e32 vcc, 0, v3
	v_cndmask_b32_e32 v0, v0, v4, vcc
	v_xor_b32_e32 v3, s8, v7
	v_xor_b32_e32 v0, v0, v3
	v_sub_co_u32_e32 v10, vcc, v0, v3
                                        ; implicit-def: $vgpr4_vgpr5
	s_andn2_saveexec_b64 s[4:5], s[6:7]
	s_cbranch_execz .LBB2_22
.LBB2_24:                               ;   in Loop: Header=BB2_12 Depth=1
	s_sub_i32 s6, 0, s19
	v_mul_lo_u32 v0, s6, v20
	v_mul_hi_u32 v0, v20, v0
	v_add_u32_e32 v0, v20, v0
	v_mul_hi_u32 v0, v4, v0
	v_mul_lo_u32 v3, v0, s19
	v_sub_u32_e32 v3, v4, v3
	v_subrev_u32_e32 v4, s19, v3
	v_cmp_le_u32_e32 vcc, s19, v3
	v_cndmask_b32_e32 v3, v3, v4, vcc
	v_add_u32_e32 v4, 1, v0
	v_cndmask_b32_e32 v0, v0, v4, vcc
	v_add_u32_e32 v4, 1, v0
	v_cmp_le_u32_e32 vcc, s19, v3
	v_cndmask_b32_e32 v10, v0, v4, vcc
	s_or_b64 exec, exec, s[4:5]
	s_and_saveexec_b64 s[30:31], s[0:1]
	s_cbranch_execz .LBB2_11
.LBB2_25:                               ;   in Loop: Header=BB2_12 Depth=1
	v_mad_u64_u32 v[4:5], s[4:5], v6, s51, v[8:9]
	v_sub_u32_e32 v0, v10, v4
	v_mul_lo_u32 v10, v2, s25
	v_ashrrev_i32_e32 v11, 31, v10
	v_lshlrev_b64 v[12:13], 1, v[10:11]
	v_mov_b32_e32 v5, s45
	v_add_co_u32_e32 v21, vcc, s44, v12
	v_addc_co_u32_e32 v22, vcc, v5, v13, vcc
	v_lshlrev_b64 v[10:11], 3, v[10:11]
	v_mov_b32_e32 v5, s47
	v_add_co_u32_e32 v23, vcc, s46, v10
	v_add_u32_e32 v3, 1, v0
	v_ashrrev_i32_e32 v0, 31, v4
	v_addc_co_u32_e32 v24, vcc, v5, v11, vcc
	v_add_u32_e32 v5, s53, v4
	v_pk_mov_b32 v[10:11], s[20:21], s[20:21] op_sel:[0,1]
	v_mul_lo_u32 v25, v5, s18
	v_mul_lo_u32 v0, s12, v0
	;; [unrolled: 1-line block ×3, first 2 shown]
	v_mad_u64_u32 v[4:5], s[6:7], s12, v4, v[10:11]
	v_add3_u32 v5, v7, v5, v0
	v_add_u32_e32 v0, s26, v6
	v_cmp_lt_i32_e64 s[4:5], 0, v3
	v_mad_u64_u32 v[6:7], s[6:7], s17, v0, v[8:9]
	s_mov_b64 s[34:35], 0
	v_mov_b32_e32 v0, v18
	s_branch .LBB2_27
.LBB2_26:                               ;   in Loop: Header=BB2_27 Depth=2
	v_lshlrev_b64 v[8:9], 1, v[0:1]
	v_add_co_u32_e32 v8, vcc, v21, v8
	v_addc_co_u32_e32 v9, vcc, v22, v9, vcc
	v_lshlrev_b64 v[10:11], 3, v[0:1]
	v_add_co_u32_e32 v10, vcc, v23, v10
	v_addc_co_u32_e32 v11, vcc, v24, v11, vcc
	v_add_u32_e32 v0, s49, v0
	v_cmp_le_i32_e32 vcc, s25, v0
	s_or_b64 s[34:35], vcc, s[34:35]
	global_store_short v[8:9], v7, off
	global_store_dwordx2 v[10:11], v[12:13], off
	s_andn2_b64 exec, exec, s[34:35]
	s_cbranch_execz .LBB2_11
.LBB2_27:                               ;   Parent Loop BB2_12 Depth=1
                                        ; =>  This Loop Header: Depth=2
                                        ;       Child Loop BB2_43 Depth 3
                                        ;         Child Loop BB2_46 Depth 4
                                        ;           Child Loop BB2_48 Depth 5
	v_or_b32_e64 v9, 0, s27
	v_mov_b32_e32 v8, v1
	v_cmp_ne_u64_e32 vcc, 0, v[8:9]
                                        ; implicit-def: $vgpr8_vgpr9
	s_and_saveexec_b64 s[6:7], vcc
	s_xor_b64 s[8:9], exec, s[6:7]
	s_cbranch_execz .LBB2_29
; %bb.28:                               ;   in Loop: Header=BB2_27 Depth=2
	s_add_u32 s6, s33, s27
	s_mov_b32 s10, s27
	s_mov_b32 s11, s27
	s_addc_u32 s7, s27, s27
	s_xor_b64 s[36:37], s[6:7], s[10:11]
	v_cvt_f32_u32_e32 v7, s36
	v_cvt_f32_u32_e32 v8, s37
	s_sub_u32 s6, 0, s36
	s_subb_u32 s7, 0, s37
	v_mac_f32_e32 v7, 0x4f800000, v8
	v_rcp_f32_e32 v7, v7
	v_mul_f32_e32 v7, 0x5f7ffffc, v7
	v_mul_f32_e32 v8, 0x2f800000, v7
	v_trunc_f32_e32 v8, v8
	v_mac_f32_e32 v7, 0xcf800000, v8
	v_cvt_u32_f32_e32 v8, v8
	v_cvt_u32_f32_e32 v7, v7
	v_mul_lo_u32 v9, s6, v8
	v_mul_hi_u32 v11, s6, v7
	v_mul_lo_u32 v10, s7, v7
	v_add_u32_e32 v9, v11, v9
	v_mul_lo_u32 v12, s6, v7
	v_add_u32_e32 v9, v9, v10
	v_mul_lo_u32 v11, v7, v9
	v_mul_hi_u32 v13, v7, v12
	v_mul_hi_u32 v10, v7, v9
	v_add_co_u32_e32 v11, vcc, v13, v11
	v_addc_co_u32_e32 v10, vcc, 0, v10, vcc
	v_mul_hi_u32 v14, v8, v12
	v_mul_lo_u32 v12, v8, v12
	v_add_co_u32_e32 v11, vcc, v11, v12
	v_mul_hi_u32 v13, v8, v9
	v_addc_co_u32_e32 v10, vcc, v10, v14, vcc
	v_addc_co_u32_e32 v11, vcc, 0, v13, vcc
	v_mul_lo_u32 v9, v8, v9
	v_add_co_u32_e32 v9, vcc, v10, v9
	v_addc_co_u32_e32 v10, vcc, 0, v11, vcc
	v_add_co_u32_e32 v7, vcc, v7, v9
	v_addc_co_u32_e32 v8, vcc, v8, v10, vcc
	v_mul_lo_u32 v9, s6, v8
	v_mul_hi_u32 v10, s6, v7
	v_add_u32_e32 v9, v10, v9
	v_mul_lo_u32 v10, s7, v7
	v_add_u32_e32 v9, v9, v10
	v_mul_lo_u32 v11, s6, v7
	v_mul_hi_u32 v12, v8, v11
	v_mul_lo_u32 v13, v8, v11
	v_mul_lo_u32 v15, v7, v9
	v_mul_hi_u32 v11, v7, v11
	v_mul_hi_u32 v14, v7, v9
	v_add_co_u32_e32 v11, vcc, v11, v15
	v_addc_co_u32_e32 v14, vcc, 0, v14, vcc
	v_add_co_u32_e32 v11, vcc, v11, v13
	v_mul_hi_u32 v10, v8, v9
	v_addc_co_u32_e32 v11, vcc, v14, v12, vcc
	v_addc_co_u32_e32 v10, vcc, 0, v10, vcc
	v_mul_lo_u32 v9, v8, v9
	v_add_co_u32_e32 v9, vcc, v11, v9
	v_addc_co_u32_e32 v10, vcc, 0, v10, vcc
	v_add_co_u32_e32 v7, vcc, v7, v9
	v_addc_co_u32_e32 v10, vcc, v8, v10, vcc
	v_ashrrev_i32_e64 v12, 31, 0
	v_add_co_u32_e32 v8, vcc, v0, v12
	v_addc_co_u32_e32 v9, vcc, 0, v12, vcc
	v_xor_b32_e32 v14, v8, v12
	v_xor_b32_e32 v13, v9, v12
	v_mad_u64_u32 v[8:9], s[6:7], v14, v10, 0
	v_mul_hi_u32 v11, v14, v7
	v_add_co_u32_e32 v15, vcc, v11, v8
	v_addc_co_u32_e32 v16, vcc, 0, v9, vcc
	v_mad_u64_u32 v[8:9], s[6:7], v13, v10, 0
	v_mad_u64_u32 v[10:11], s[6:7], v13, v7, 0
	v_add_co_u32_e32 v7, vcc, v15, v10
	v_addc_co_u32_e32 v7, vcc, v16, v11, vcc
	v_addc_co_u32_e32 v9, vcc, 0, v9, vcc
	v_add_co_u32_e32 v7, vcc, v7, v8
	v_addc_co_u32_e32 v10, vcc, 0, v9, vcc
	v_mul_lo_u32 v11, s37, v7
	v_mul_lo_u32 v15, s36, v10
	v_mad_u64_u32 v[8:9], s[6:7], s36, v7, 0
	v_add3_u32 v9, v9, v15, v11
	v_sub_u32_e32 v11, v13, v9
	v_mov_b32_e32 v15, s37
	v_sub_co_u32_e32 v8, vcc, v14, v8
	v_subb_co_u32_e64 v11, s[6:7], v11, v15, vcc
	v_subrev_co_u32_e64 v14, s[6:7], s36, v8
	v_subbrev_co_u32_e64 v11, s[6:7], 0, v11, s[6:7]
	v_cmp_le_u32_e64 s[6:7], s37, v11
	v_cndmask_b32_e64 v15, 0, -1, s[6:7]
	v_cmp_le_u32_e64 s[6:7], s36, v14
	v_cndmask_b32_e64 v14, 0, -1, s[6:7]
	v_cmp_eq_u32_e64 s[6:7], s37, v11
	v_cndmask_b32_e64 v11, v15, v14, s[6:7]
	v_add_co_u32_e64 v14, s[6:7], 2, v7
	v_subb_co_u32_e32 v9, vcc, v13, v9, vcc
	v_addc_co_u32_e64 v15, s[6:7], 0, v10, s[6:7]
	v_cmp_le_u32_e32 vcc, s37, v9
	v_add_co_u32_e64 v16, s[6:7], 1, v7
	v_cndmask_b32_e64 v13, 0, -1, vcc
	v_cmp_le_u32_e32 vcc, s36, v8
	v_addc_co_u32_e64 v17, s[6:7], 0, v10, s[6:7]
	v_cndmask_b32_e64 v8, 0, -1, vcc
	v_cmp_eq_u32_e32 vcc, s37, v9
	v_cmp_ne_u32_e64 s[6:7], 0, v11
	v_cndmask_b32_e32 v8, v13, v8, vcc
	v_cndmask_b32_e64 v11, v17, v15, s[6:7]
	v_cmp_ne_u32_e32 vcc, 0, v8
	v_cndmask_b32_e64 v9, v16, v14, s[6:7]
	v_cndmask_b32_e32 v8, v10, v11, vcc
	v_cndmask_b32_e32 v7, v7, v9, vcc
	v_xor_b32_e32 v10, s10, v12
	v_xor_b32_e32 v9, s11, v12
	;; [unrolled: 1-line block ×4, first 2 shown]
	v_sub_co_u32_e32 v8, vcc, v7, v10
	v_subb_co_u32_e32 v9, vcc, v11, v9, vcc
.LBB2_29:                               ;   in Loop: Header=BB2_27 Depth=2
	s_or_saveexec_b64 s[6:7], s[8:9]
	v_cvt_f32_u32_e32 v7, s33
	s_xor_b64 exec, exec, s[6:7]
	s_cbranch_execz .LBB2_31
; %bb.30:                               ;   in Loop: Header=BB2_27 Depth=2
	v_rcp_iflag_f32_e32 v8, v7
	s_sub_i32 s8, 0, s33
	v_mul_f32_e32 v8, 0x4f7ffffe, v8
	v_cvt_u32_f32_e32 v8, v8
	v_mul_lo_u32 v9, s8, v8
	v_mul_hi_u32 v9, v8, v9
	v_add_u32_e32 v8, v8, v9
	v_mul_hi_u32 v8, v0, v8
	v_mul_lo_u32 v9, v8, s33
	v_sub_u32_e32 v9, v0, v9
	v_add_u32_e32 v10, 1, v8
	v_subrev_u32_e32 v11, s33, v9
	v_cmp_le_u32_e32 vcc, s33, v9
	v_cndmask_b32_e32 v9, v9, v11, vcc
	v_cndmask_b32_e32 v8, v8, v10, vcc
	v_add_u32_e32 v10, 1, v8
	v_cmp_le_u32_e32 vcc, s33, v9
	v_cndmask_b32_e32 v8, v8, v10, vcc
	v_mov_b32_e32 v9, v1
.LBB2_31:                               ;   in Loop: Header=BB2_27 Depth=2
	s_or_b64 exec, exec, s[6:7]
	v_mul_lo_u32 v9, v9, s33
	v_mul_lo_u32 v12, v8, s27
	v_mad_u64_u32 v[10:11], s[6:7], v8, s33, 0
	v_add3_u32 v9, v11, v12, v9
	v_sub_co_u32_e32 v10, vcc, v0, v10
	v_subb_co_u32_e32 v9, vcc, 0, v9, vcc
	v_mul_lo_u32 v9, v9, s18
	v_mul_lo_u32 v11, v10, s52
	v_mad_u64_u32 v[12:13], s[6:7], v10, s18, 0
	v_add3_u32 v13, v13, v11, v9
	v_or_b32_e32 v11, s27, v13
	v_mov_b32_e32 v10, v1
	v_cmp_ne_u64_e32 vcc, 0, v[10:11]
                                        ; implicit-def: $vgpr10_vgpr11
	s_and_saveexec_b64 s[6:7], vcc
	s_xor_b64 s[8:9], exec, s[6:7]
	s_cbranch_execz .LBB2_33
; %bb.32:                               ;   in Loop: Header=BB2_27 Depth=2
	s_add_u32 s6, s33, s27
	s_mov_b32 s10, s27
	s_mov_b32 s11, s27
	s_addc_u32 s7, s27, s27
	s_xor_b64 s[36:37], s[6:7], s[10:11]
	v_cvt_f32_u32_e32 v9, s36
	v_cvt_f32_u32_e32 v10, s37
	s_sub_u32 s6, 0, s36
	s_subb_u32 s7, 0, s37
	v_mac_f32_e32 v9, 0x4f800000, v10
	v_rcp_f32_e32 v9, v9
	v_mul_f32_e32 v9, 0x5f7ffffc, v9
	v_mul_f32_e32 v10, 0x2f800000, v9
	v_trunc_f32_e32 v10, v10
	v_mac_f32_e32 v9, 0xcf800000, v10
	v_cvt_u32_f32_e32 v10, v10
	v_cvt_u32_f32_e32 v9, v9
	v_mul_lo_u32 v11, s6, v10
	v_mul_hi_u32 v15, s6, v9
	v_mul_lo_u32 v14, s7, v9
	v_add_u32_e32 v11, v15, v11
	v_mul_lo_u32 v16, s6, v9
	v_add_u32_e32 v11, v11, v14
	v_mul_lo_u32 v15, v9, v11
	v_mul_hi_u32 v17, v9, v16
	v_mul_hi_u32 v14, v9, v11
	v_add_co_u32_e32 v15, vcc, v17, v15
	v_addc_co_u32_e32 v14, vcc, 0, v14, vcc
	v_mul_hi_u32 v26, v10, v16
	v_mul_lo_u32 v16, v10, v16
	v_add_co_u32_e32 v15, vcc, v15, v16
	v_mul_hi_u32 v17, v10, v11
	v_addc_co_u32_e32 v14, vcc, v14, v26, vcc
	v_addc_co_u32_e32 v15, vcc, 0, v17, vcc
	v_mul_lo_u32 v11, v10, v11
	v_add_co_u32_e32 v11, vcc, v14, v11
	v_addc_co_u32_e32 v14, vcc, 0, v15, vcc
	v_add_co_u32_e32 v9, vcc, v9, v11
	v_addc_co_u32_e32 v10, vcc, v10, v14, vcc
	v_mul_lo_u32 v11, s6, v10
	v_mul_hi_u32 v14, s6, v9
	v_add_u32_e32 v11, v14, v11
	v_mul_lo_u32 v14, s7, v9
	v_add_u32_e32 v11, v11, v14
	v_mul_lo_u32 v15, s6, v9
	v_mul_hi_u32 v16, v10, v15
	v_mul_lo_u32 v17, v10, v15
	v_mul_lo_u32 v27, v9, v11
	v_mul_hi_u32 v15, v9, v15
	v_mul_hi_u32 v26, v9, v11
	v_add_co_u32_e32 v15, vcc, v15, v27
	v_addc_co_u32_e32 v26, vcc, 0, v26, vcc
	v_add_co_u32_e32 v15, vcc, v15, v17
	v_mul_hi_u32 v14, v10, v11
	v_addc_co_u32_e32 v15, vcc, v26, v16, vcc
	v_addc_co_u32_e32 v14, vcc, 0, v14, vcc
	v_mul_lo_u32 v11, v10, v11
	v_add_co_u32_e32 v11, vcc, v15, v11
	v_addc_co_u32_e32 v14, vcc, 0, v14, vcc
	v_add_co_u32_e32 v9, vcc, v9, v11
	v_addc_co_u32_e32 v14, vcc, v10, v14, vcc
	v_ashrrev_i32_e32 v15, 31, v13
	v_add_co_u32_e32 v10, vcc, v12, v15
	v_addc_co_u32_e32 v11, vcc, v13, v15, vcc
	v_xor_b32_e32 v17, v10, v15
	v_xor_b32_e32 v16, v11, v15
	v_mad_u64_u32 v[10:11], s[6:7], v17, v14, 0
	v_mul_hi_u32 v12, v17, v9
	v_add_co_u32_e32 v26, vcc, v12, v10
	v_addc_co_u32_e32 v27, vcc, 0, v11, vcc
	v_mad_u64_u32 v[12:13], s[6:7], v16, v9, 0
	v_add_co_u32_e32 v9, vcc, v26, v12
	v_mad_u64_u32 v[10:11], s[6:7], v16, v14, 0
	v_addc_co_u32_e32 v9, vcc, v27, v13, vcc
	v_addc_co_u32_e32 v11, vcc, 0, v11, vcc
	v_add_co_u32_e32 v9, vcc, v9, v10
	v_addc_co_u32_e32 v12, vcc, 0, v11, vcc
	v_mul_lo_u32 v13, s37, v9
	v_mul_lo_u32 v14, s36, v12
	v_mad_u64_u32 v[10:11], s[6:7], s36, v9, 0
	v_add3_u32 v11, v11, v14, v13
	v_sub_u32_e32 v13, v16, v11
	v_mov_b32_e32 v14, s37
	v_sub_co_u32_e32 v10, vcc, v17, v10
	v_subb_co_u32_e64 v13, s[6:7], v13, v14, vcc
	v_subrev_co_u32_e64 v14, s[6:7], s36, v10
	v_subbrev_co_u32_e64 v13, s[6:7], 0, v13, s[6:7]
	v_cmp_le_u32_e64 s[6:7], s37, v13
	v_cndmask_b32_e64 v17, 0, -1, s[6:7]
	v_cmp_le_u32_e64 s[6:7], s36, v14
	v_cndmask_b32_e64 v14, 0, -1, s[6:7]
	v_cmp_eq_u32_e64 s[6:7], s37, v13
	v_cndmask_b32_e64 v13, v17, v14, s[6:7]
	v_add_co_u32_e64 v14, s[6:7], 2, v9
	v_subb_co_u32_e32 v11, vcc, v16, v11, vcc
	v_addc_co_u32_e64 v17, s[6:7], 0, v12, s[6:7]
	v_cmp_le_u32_e32 vcc, s37, v11
	v_add_co_u32_e64 v26, s[6:7], 1, v9
	v_cndmask_b32_e64 v16, 0, -1, vcc
	v_cmp_le_u32_e32 vcc, s36, v10
	v_addc_co_u32_e64 v27, s[6:7], 0, v12, s[6:7]
	v_cndmask_b32_e64 v10, 0, -1, vcc
	v_cmp_eq_u32_e32 vcc, s37, v11
	v_cmp_ne_u32_e64 s[6:7], 0, v13
	v_cndmask_b32_e32 v10, v16, v10, vcc
	v_cndmask_b32_e64 v13, v27, v17, s[6:7]
	v_cmp_ne_u32_e32 vcc, 0, v10
	v_cndmask_b32_e64 v11, v26, v14, s[6:7]
	v_cndmask_b32_e32 v10, v12, v13, vcc
	v_cndmask_b32_e32 v9, v9, v11, vcc
	v_xor_b32_e32 v12, s10, v15
	v_xor_b32_e32 v11, s11, v15
	;; [unrolled: 1-line block ×4, first 2 shown]
	v_sub_co_u32_e32 v10, vcc, v9, v12
	v_subb_co_u32_e32 v11, vcc, v13, v11, vcc
                                        ; implicit-def: $vgpr12_vgpr13
.LBB2_33:                               ;   in Loop: Header=BB2_27 Depth=2
	s_andn2_saveexec_b64 s[6:7], s[8:9]
	s_cbranch_execz .LBB2_35
; %bb.34:                               ;   in Loop: Header=BB2_27 Depth=2
	v_rcp_iflag_f32_e32 v9, v7
	s_sub_i32 s8, 0, s33
	v_mul_f32_e32 v9, 0x4f7ffffe, v9
	v_cvt_u32_f32_e32 v9, v9
	v_mul_lo_u32 v10, s8, v9
	v_mul_hi_u32 v10, v9, v10
	v_add_u32_e32 v9, v9, v10
	v_mul_hi_u32 v9, v12, v9
	v_mul_lo_u32 v10, v9, s33
	v_sub_u32_e32 v10, v12, v10
	v_add_u32_e32 v11, 1, v9
	v_subrev_u32_e32 v12, s33, v10
	v_cmp_le_u32_e32 vcc, s33, v10
	v_cndmask_b32_e32 v10, v10, v12, vcc
	v_cndmask_b32_e32 v9, v9, v11, vcc
	v_add_u32_e32 v11, 1, v9
	v_cmp_le_u32_e32 vcc, s33, v10
	v_cndmask_b32_e32 v10, v9, v11, vcc
	v_mov_b32_e32 v11, v1
.LBB2_35:                               ;   in Loop: Header=BB2_27 Depth=2
	s_or_b64 exec, exec, s[6:7]
	v_add_co_u32_e32 v9, vcc, 1, v0
	v_addc_co_u32_e64 v12, s[6:7], 0, 0, vcc
	v_mul_lo_u32 v14, v9, s52
	v_mul_lo_u32 v15, v12, s18
	v_mad_u64_u32 v[12:13], s[6:7], v9, s18, -1
	v_add3_u32 v13, v15, v13, v14
	v_or_b32_e32 v15, s27, v13
	v_mov_b32_e32 v14, v1
	v_cmp_ne_u64_e32 vcc, 0, v[14:15]
                                        ; implicit-def: $vgpr14_vgpr15
	s_and_saveexec_b64 s[6:7], vcc
	s_xor_b64 s[8:9], exec, s[6:7]
	s_cbranch_execz .LBB2_37
; %bb.36:                               ;   in Loop: Header=BB2_27 Depth=2
	s_add_u32 s6, s33, s27
	s_mov_b32 s10, s27
	s_mov_b32 s11, s27
	s_addc_u32 s7, s27, s27
	s_xor_b64 s[36:37], s[6:7], s[10:11]
	v_cvt_f32_u32_e32 v7, s36
	v_cvt_f32_u32_e32 v9, s37
	s_sub_u32 s6, 0, s36
	s_subb_u32 s7, 0, s37
	v_mac_f32_e32 v7, 0x4f800000, v9
	v_rcp_f32_e32 v7, v7
	v_mul_f32_e32 v7, 0x5f7ffffc, v7
	v_mul_f32_e32 v9, 0x2f800000, v7
	v_trunc_f32_e32 v9, v9
	v_mac_f32_e32 v7, 0xcf800000, v9
	v_cvt_u32_f32_e32 v9, v9
	v_cvt_u32_f32_e32 v7, v7
	v_mul_lo_u32 v14, s6, v9
	v_mul_hi_u32 v16, s6, v7
	v_mul_lo_u32 v15, s7, v7
	v_add_u32_e32 v14, v16, v14
	v_mul_lo_u32 v17, s6, v7
	v_add_u32_e32 v14, v14, v15
	v_mul_lo_u32 v16, v7, v14
	v_mul_hi_u32 v26, v7, v17
	v_mul_hi_u32 v15, v7, v14
	v_add_co_u32_e32 v16, vcc, v26, v16
	v_addc_co_u32_e32 v15, vcc, 0, v15, vcc
	v_mul_hi_u32 v27, v9, v17
	v_mul_lo_u32 v17, v9, v17
	v_add_co_u32_e32 v16, vcc, v16, v17
	v_mul_hi_u32 v26, v9, v14
	v_addc_co_u32_e32 v15, vcc, v15, v27, vcc
	v_addc_co_u32_e32 v16, vcc, 0, v26, vcc
	v_mul_lo_u32 v14, v9, v14
	v_add_co_u32_e32 v14, vcc, v15, v14
	v_addc_co_u32_e32 v15, vcc, 0, v16, vcc
	v_add_co_u32_e32 v7, vcc, v7, v14
	v_addc_co_u32_e32 v9, vcc, v9, v15, vcc
	v_mul_lo_u32 v14, s6, v9
	v_mul_hi_u32 v15, s6, v7
	v_add_u32_e32 v14, v15, v14
	v_mul_lo_u32 v15, s7, v7
	v_add_u32_e32 v14, v14, v15
	v_mul_lo_u32 v16, s6, v7
	v_mul_hi_u32 v17, v9, v16
	v_mul_lo_u32 v26, v9, v16
	v_mul_lo_u32 v28, v7, v14
	v_mul_hi_u32 v16, v7, v16
	v_mul_hi_u32 v27, v7, v14
	v_add_co_u32_e32 v16, vcc, v16, v28
	v_addc_co_u32_e32 v27, vcc, 0, v27, vcc
	v_add_co_u32_e32 v16, vcc, v16, v26
	v_mul_hi_u32 v15, v9, v14
	v_addc_co_u32_e32 v16, vcc, v27, v17, vcc
	v_addc_co_u32_e32 v15, vcc, 0, v15, vcc
	v_mul_lo_u32 v14, v9, v14
	v_add_co_u32_e32 v14, vcc, v16, v14
	v_addc_co_u32_e32 v15, vcc, 0, v15, vcc
	v_add_co_u32_e32 v7, vcc, v7, v14
	v_addc_co_u32_e32 v9, vcc, v9, v15, vcc
	v_ashrrev_i32_e32 v16, 31, v13
	v_add_co_u32_e32 v12, vcc, v12, v16
	v_addc_co_u32_e32 v13, vcc, v13, v16, vcc
	v_xor_b32_e32 v26, v12, v16
	v_xor_b32_e32 v17, v13, v16
	v_mad_u64_u32 v[12:13], s[6:7], v26, v9, 0
	v_mul_hi_u32 v14, v26, v7
	v_add_co_u32_e32 v27, vcc, v14, v12
	v_addc_co_u32_e32 v28, vcc, 0, v13, vcc
	v_mad_u64_u32 v[14:15], s[6:7], v17, v7, 0
	v_add_co_u32_e32 v7, vcc, v27, v14
	v_mad_u64_u32 v[12:13], s[6:7], v17, v9, 0
	v_addc_co_u32_e32 v7, vcc, v28, v15, vcc
	v_addc_co_u32_e32 v9, vcc, 0, v13, vcc
	v_add_co_u32_e32 v7, vcc, v7, v12
	v_addc_co_u32_e32 v9, vcc, 0, v9, vcc
	v_mul_lo_u32 v14, s37, v7
	v_mul_lo_u32 v9, s36, v9
	v_mad_u64_u32 v[12:13], s[6:7], s36, v7, 0
	v_add3_u32 v9, v13, v9, v14
	v_sub_u32_e32 v13, v17, v9
	v_mov_b32_e32 v14, s37
	v_sub_co_u32_e32 v12, vcc, v26, v12
	v_subb_co_u32_e64 v13, s[6:7], v13, v14, vcc
	v_subrev_co_u32_e64 v14, s[6:7], s36, v12
	v_subbrev_co_u32_e64 v13, s[6:7], 0, v13, s[6:7]
	v_cmp_le_u32_e64 s[6:7], s37, v13
	v_subb_co_u32_e32 v9, vcc, v17, v9, vcc
	v_cndmask_b32_e64 v15, 0, -1, s[6:7]
	v_cmp_le_u32_e64 s[6:7], s36, v14
	v_cmp_le_u32_e32 vcc, s37, v9
	v_cndmask_b32_e64 v14, 0, -1, s[6:7]
	v_cmp_eq_u32_e64 s[6:7], s37, v13
	v_cndmask_b32_e64 v17, 0, -1, vcc
	v_cmp_le_u32_e32 vcc, s36, v12
	v_cndmask_b32_e64 v13, v15, v14, s[6:7]
	v_cndmask_b32_e64 v12, 0, -1, vcc
	v_cmp_eq_u32_e32 vcc, s37, v9
	v_add_co_u32_e64 v14, s[6:7], 2, v7
	v_add_co_u32_e64 v15, s[6:7], 1, v7
	v_cndmask_b32_e32 v9, v17, v12, vcc
	v_cmp_ne_u32_e32 vcc, 0, v13
	v_cndmask_b32_e32 v12, v15, v14, vcc
	v_cmp_ne_u32_e32 vcc, 0, v9
	v_cndmask_b32_e32 v7, v7, v12, vcc
	v_xor_b32_e32 v9, s10, v16
	v_xor_b32_e32 v7, v7, v9
	v_sub_co_u32_e32 v14, vcc, v7, v9
                                        ; implicit-def: $vgpr7
                                        ; implicit-def: $vgpr12_vgpr13
.LBB2_37:                               ;   in Loop: Header=BB2_27 Depth=2
	s_andn2_saveexec_b64 s[6:7], s[8:9]
	s_cbranch_execz .LBB2_39
; %bb.38:                               ;   in Loop: Header=BB2_27 Depth=2
	v_rcp_iflag_f32_e32 v7, v7
	s_sub_i32 s8, 0, s33
	v_mul_f32_e32 v7, 0x4f7ffffe, v7
	v_cvt_u32_f32_e32 v7, v7
	v_mul_lo_u32 v9, s8, v7
	v_mul_hi_u32 v9, v7, v9
	v_add_u32_e32 v7, v7, v9
	v_mul_hi_u32 v7, v12, v7
	v_mul_lo_u32 v9, v7, s33
	v_sub_u32_e32 v9, v12, v9
	v_add_u32_e32 v13, 1, v7
	v_subrev_u32_e32 v12, s33, v9
	v_cmp_le_u32_e32 vcc, s33, v9
	v_cndmask_b32_e32 v9, v9, v12, vcc
	v_cndmask_b32_e32 v7, v7, v13, vcc
	v_add_u32_e32 v12, 1, v7
	v_cmp_le_u32_e32 vcc, s33, v9
	v_cndmask_b32_e32 v14, v7, v12, vcc
.LBB2_39:                               ;   in Loop: Header=BB2_27 Depth=2
	s_or_b64 exec, exec, s[6:7]
	v_mad_u64_u32 v[16:17], s[6:7], v8, s18, v[10:11]
	v_add_u32_e32 v12, v25, v16
	v_ashrrev_i32_e32 v13, 31, v12
	s_andn2_b64 vcc, exec, s[2:3]
	v_mov_b32_e32 v7, 0xfffffc00
	s_cbranch_vccnz .LBB2_26
; %bb.40:                               ;   in Loop: Header=BB2_27 Depth=2
	v_sub_u32_e32 v7, v14, v16
	v_add_u32_e32 v26, 1, v7
	v_ashrrev_i32_e32 v7, 31, v16
	v_mad_u64_u32 v[14:15], s[8:9], s14, v16, v[4:5]
	v_mul_lo_u32 v9, s15, v16
	v_mul_lo_u32 v7, s14, v7
	v_add3_u32 v15, v9, v15, v7
	v_add_u32_e32 v7, v6, v8
	s_mov_b32 s55, 0
	v_cmp_lt_i32_e64 s[6:7], 0, v26
	v_mad_u64_u32 v[8:9], s[8:9], s18, v7, v[10:11]
	v_mov_b32_e32 v7, 0xfffffc00
	s_branch .LBB2_43
.LBB2_41:                               ;   in Loop: Header=BB2_43 Depth=3
	s_or_b64 exec, exec, s[38:39]
.LBB2_42:                               ;   in Loop: Header=BB2_43 Depth=3
	s_or_b64 exec, exec, s[36:37]
	v_mov_b32_e32 v9, s23
	v_add_co_u32_e32 v14, vcc, s22, v14
	s_add_i32 s55, s55, 1
	v_addc_co_u32_e32 v15, vcc, v15, v9, vcc
	v_cmp_ne_u32_e32 vcc, s55, v19
	v_add_u32_e32 v8, s54, v8
	s_cbranch_vccz .LBB2_26
.LBB2_43:                               ;   Parent Loop BB2_12 Depth=1
                                        ;     Parent Loop BB2_27 Depth=2
                                        ; =>    This Loop Header: Depth=3
                                        ;         Child Loop BB2_46 Depth 4
                                        ;           Child Loop BB2_48 Depth 5
	s_and_saveexec_b64 s[36:37], s[4:5]
	s_cbranch_execz .LBB2_42
; %bb.44:                               ;   in Loop: Header=BB2_43 Depth=3
	s_mov_b32 s56, 0
	s_mov_b64 s[38:39], 0
	v_mov_b32_e32 v9, v8
	v_pk_mov_b32 v[10:11], v[14:15], v[14:15] op_sel:[0,1]
	s_branch .LBB2_46
.LBB2_45:                               ;   in Loop: Header=BB2_46 Depth=4
	s_or_b64 exec, exec, s[40:41]
	v_mov_b32_e32 v16, s13
	v_add_co_u32_e32 v10, vcc, s12, v10
	s_add_i32 s56, s56, 1
	v_addc_co_u32_e32 v11, vcc, v11, v16, vcc
	v_cmp_ge_i32_e32 vcc, s56, v3
	s_or_b64 s[38:39], vcc, s[38:39]
	v_add_u32_e32 v9, s18, v9
	s_andn2_b64 exec, exec, s[38:39]
	s_cbranch_execz .LBB2_41
.LBB2_46:                               ;   Parent Loop BB2_12 Depth=1
                                        ;     Parent Loop BB2_27 Depth=2
                                        ;       Parent Loop BB2_43 Depth=3
                                        ; =>      This Loop Header: Depth=4
                                        ;           Child Loop BB2_48 Depth 5
	s_and_saveexec_b64 s[40:41], s[6:7]
	s_cbranch_execz .LBB2_45
; %bb.47:                               ;   in Loop: Header=BB2_46 Depth=4
	s_mov_b32 s57, 0
	s_mov_b64 s[42:43], 0
	v_pk_mov_b32 v[16:17], v[10:11], v[10:11] op_sel:[0,1]
.LBB2_48:                               ;   Parent Loop BB2_12 Depth=1
                                        ;     Parent Loop BB2_27 Depth=2
                                        ;       Parent Loop BB2_43 Depth=3
                                        ;         Parent Loop BB2_46 Depth=4
                                        ; =>        This Inner Loop Header: Depth=5
	global_load_ushort v27, v[16:17], off
	v_mov_b32_e32 v29, s15
	v_add_co_u32_e32 v16, vcc, s14, v16
	v_add_u32_e32 v28, s57, v9
	s_add_i32 s57, s57, 1
	v_addc_co_u32_e32 v17, vcc, v17, v29, vcc
	v_ashrrev_i32_e32 v30, 31, v28
	v_cmp_ge_i32_e32 vcc, s57, v26
	s_waitcnt vmcnt(0)
	v_cmp_gt_f16_e64 s[8:9], v27, v7
	v_cmp_u_f16_e64 s[10:11], v27, v27
	s_or_b64 s[8:9], s[8:9], s[10:11]
	v_cndmask_b32_e64 v7, v7, v27, s[8:9]
	v_cndmask_b32_e64 v13, v13, v30, s[8:9]
	s_or_b64 s[42:43], vcc, s[42:43]
	v_cndmask_b32_e64 v12, v12, v28, s[8:9]
	s_andn2_b64 exec, exec, s[42:43]
	s_cbranch_execnz .LBB2_48
; %bb.49:                               ;   in Loop: Header=BB2_46 Depth=4
	s_or_b64 exec, exec, s[42:43]
	s_branch .LBB2_45
.LBB2_50:
	s_endpgm
.LBB2_51:
                                        ; implicit-def: $sgpr28_sgpr29
	s_branch .LBB2_2
.LBB2_52:
                                        ; implicit-def: $sgpr26_sgpr27
	s_load_dword s36, s[4:5], 0x64
	s_branch .LBB2_5
.LBB2_53:
                                        ; implicit-def: $vgpr4_vgpr5
	s_load_dword s48, s[4:5], 0x5c
	s_andn2_b64 vcc, exec, s[22:23]
	s_cbranch_vccz .LBB2_9
	s_branch .LBB2_10
	.section	.rodata,"a",@progbits
	.p2align	6, 0x0
	.amdhsa_kernel _ZN2at6native12_GLOBAL__N_115adaptivemaxpoolIN3c104HalfEEEvPKT_PS5_Pliiiiiilllll
		.amdhsa_group_segment_fixed_size 0
		.amdhsa_private_segment_fixed_size 0
		.amdhsa_kernarg_size 344
		.amdhsa_user_sgpr_count 6
		.amdhsa_user_sgpr_private_segment_buffer 1
		.amdhsa_user_sgpr_dispatch_ptr 0
		.amdhsa_user_sgpr_queue_ptr 0
		.amdhsa_user_sgpr_kernarg_segment_ptr 1
		.amdhsa_user_sgpr_dispatch_id 0
		.amdhsa_user_sgpr_flat_scratch_init 0
		.amdhsa_user_sgpr_kernarg_preload_length 0
		.amdhsa_user_sgpr_kernarg_preload_offset 0
		.amdhsa_user_sgpr_private_segment_size 0
		.amdhsa_uses_dynamic_stack 0
		.amdhsa_system_sgpr_private_segment_wavefront_offset 0
		.amdhsa_system_sgpr_workgroup_id_x 1
		.amdhsa_system_sgpr_workgroup_id_y 1
		.amdhsa_system_sgpr_workgroup_id_z 0
		.amdhsa_system_sgpr_workgroup_info 0
		.amdhsa_system_vgpr_workitem_id 1
		.amdhsa_next_free_vgpr 31
		.amdhsa_next_free_sgpr 58
		.amdhsa_accum_offset 32
		.amdhsa_reserve_vcc 1
		.amdhsa_reserve_flat_scratch 0
		.amdhsa_float_round_mode_32 0
		.amdhsa_float_round_mode_16_64 0
		.amdhsa_float_denorm_mode_32 3
		.amdhsa_float_denorm_mode_16_64 3
		.amdhsa_dx10_clamp 1
		.amdhsa_ieee_mode 1
		.amdhsa_fp16_overflow 0
		.amdhsa_tg_split 0
		.amdhsa_exception_fp_ieee_invalid_op 0
		.amdhsa_exception_fp_denorm_src 0
		.amdhsa_exception_fp_ieee_div_zero 0
		.amdhsa_exception_fp_ieee_overflow 0
		.amdhsa_exception_fp_ieee_underflow 0
		.amdhsa_exception_fp_ieee_inexact 0
		.amdhsa_exception_int_div_zero 0
	.end_amdhsa_kernel
	.section	.text._ZN2at6native12_GLOBAL__N_115adaptivemaxpoolIN3c104HalfEEEvPKT_PS5_Pliiiiiilllll,"axG",@progbits,_ZN2at6native12_GLOBAL__N_115adaptivemaxpoolIN3c104HalfEEEvPKT_PS5_Pliiiiiilllll,comdat
.Lfunc_end2:
	.size	_ZN2at6native12_GLOBAL__N_115adaptivemaxpoolIN3c104HalfEEEvPKT_PS5_Pliiiiiilllll, .Lfunc_end2-_ZN2at6native12_GLOBAL__N_115adaptivemaxpoolIN3c104HalfEEEvPKT_PS5_Pliiiiiilllll
                                        ; -- End function
	.section	.AMDGPU.csdata,"",@progbits
; Kernel info:
; codeLenInByte = 7544
; NumSgprs: 62
; NumVgprs: 31
; NumAgprs: 0
; TotalNumVgprs: 31
; ScratchSize: 0
; MemoryBound: 0
; FloatMode: 240
; IeeeMode: 1
; LDSByteSize: 0 bytes/workgroup (compile time only)
; SGPRBlocks: 7
; VGPRBlocks: 3
; NumSGPRsForWavesPerEU: 62
; NumVGPRsForWavesPerEU: 31
; AccumOffset: 32
; Occupancy: 8
; WaveLimiterHint : 0
; COMPUTE_PGM_RSRC2:SCRATCH_EN: 0
; COMPUTE_PGM_RSRC2:USER_SGPR: 6
; COMPUTE_PGM_RSRC2:TRAP_HANDLER: 0
; COMPUTE_PGM_RSRC2:TGID_X_EN: 1
; COMPUTE_PGM_RSRC2:TGID_Y_EN: 1
; COMPUTE_PGM_RSRC2:TGID_Z_EN: 0
; COMPUTE_PGM_RSRC2:TIDIG_COMP_CNT: 1
; COMPUTE_PGM_RSRC3_GFX90A:ACCUM_OFFSET: 7
; COMPUTE_PGM_RSRC3_GFX90A:TG_SPLIT: 0
	.section	.text._ZN2at6native12_GLOBAL__N_115adaptivemaxpoolIN3c108BFloat16EEEvPKT_PS5_Pliiiiiilllll,"axG",@progbits,_ZN2at6native12_GLOBAL__N_115adaptivemaxpoolIN3c108BFloat16EEEvPKT_PS5_Pliiiiiilllll,comdat
	.globl	_ZN2at6native12_GLOBAL__N_115adaptivemaxpoolIN3c108BFloat16EEEvPKT_PS5_Pliiiiiilllll ; -- Begin function _ZN2at6native12_GLOBAL__N_115adaptivemaxpoolIN3c108BFloat16EEEvPKT_PS5_Pliiiiiilllll
	.p2align	8
	.type	_ZN2at6native12_GLOBAL__N_115adaptivemaxpoolIN3c108BFloat16EEEvPKT_PS5_Pliiiiiilllll,@function
_ZN2at6native12_GLOBAL__N_115adaptivemaxpoolIN3c108BFloat16EEEvPKT_PS5_Pliiiiiilllll: ; @_ZN2at6native12_GLOBAL__N_115adaptivemaxpoolIN3c108BFloat16EEEvPKT_PS5_Pliiiiiilllll
; %bb.0:
	s_load_dwordx2 s[0:1], s[4:5], 0x50
	s_load_dwordx4 s[16:19], s[4:5], 0x18
	s_load_dwordx2 s[24:25], s[4:5], 0x28
	s_mov_b32 s8, 0
	s_waitcnt lgkmcnt(0)
	s_add_u32 s2, s6, s0
	s_addc_u32 s3, 0, s1
	s_ashr_i32 s21, s19, 31
	s_mov_b32 s20, s19
	s_or_b64 s[0:1], s[2:3], s[20:21]
	s_mov_b32 s9, s1
	s_cmp_lg_u64 s[8:9], 0
	s_cbranch_scc0 .LBB3_51
; %bb.1:
	s_add_u32 s0, s20, s21
	s_mov_b32 s10, s21
	s_mov_b32 s11, s21
	s_addc_u32 s1, s21, s21
	s_xor_b64 s[12:13], s[0:1], s[10:11]
	v_cvt_f32_u32_e32 v1, s12
	v_cvt_f32_u32_e32 v2, s13
	s_sub_u32 s0, 0, s12
	s_subb_u32 s1, 0, s13
	v_madmk_f32 v1, v2, 0x4f800000, v1
	v_rcp_f32_e32 v1, v1
	v_mul_f32_e32 v1, 0x5f7ffffc, v1
	v_mul_f32_e32 v2, 0x2f800000, v1
	v_trunc_f32_e32 v2, v2
	v_madmk_f32 v1, v2, 0xcf800000, v1
	v_cvt_u32_f32_e32 v2, v2
	v_cvt_u32_f32_e32 v1, v1
	v_readfirstlane_b32 s6, v2
	v_readfirstlane_b32 s14, v1
	s_mul_i32 s15, s0, s6
	s_mul_hi_u32 s22, s0, s14
	s_mul_i32 s19, s1, s14
	s_add_i32 s15, s22, s15
	s_add_i32 s15, s15, s19
	s_mul_i32 s23, s0, s14
	s_mul_hi_u32 s19, s14, s15
	s_mul_i32 s22, s14, s15
	s_mul_hi_u32 s14, s14, s23
	s_add_u32 s14, s14, s22
	s_addc_u32 s19, 0, s19
	s_mul_hi_u32 s26, s6, s23
	s_mul_i32 s23, s6, s23
	s_add_u32 s14, s14, s23
	s_mul_hi_u32 s22, s6, s15
	s_addc_u32 s14, s19, s26
	s_addc_u32 s19, s22, 0
	s_mul_i32 s15, s6, s15
	s_add_u32 s14, s14, s15
	s_addc_u32 s15, 0, s19
	v_add_co_u32_e32 v1, vcc, s14, v1
	s_cmp_lg_u64 vcc, 0
	s_addc_u32 s6, s6, s15
	v_readfirstlane_b32 s15, v1
	s_mul_i32 s14, s0, s6
	s_mul_hi_u32 s19, s0, s15
	s_add_i32 s14, s19, s14
	s_mul_i32 s1, s1, s15
	s_add_i32 s14, s14, s1
	s_mul_i32 s0, s0, s15
	s_mul_hi_u32 s19, s6, s0
	s_mul_i32 s22, s6, s0
	s_mul_i32 s26, s15, s14
	s_mul_hi_u32 s0, s15, s0
	s_mul_hi_u32 s23, s15, s14
	s_add_u32 s0, s0, s26
	s_addc_u32 s15, 0, s23
	s_add_u32 s0, s0, s22
	s_mul_hi_u32 s1, s6, s14
	s_addc_u32 s0, s15, s19
	s_addc_u32 s1, s1, 0
	s_mul_i32 s14, s6, s14
	s_add_u32 s0, s0, s14
	s_addc_u32 s1, 0, s1
	v_add_co_u32_e32 v1, vcc, s0, v1
	s_cmp_lg_u64 vcc, 0
	s_addc_u32 s6, s6, s1
	s_ashr_i32 s14, s3, 31
	s_add_u32 s0, s2, s14
	s_mov_b32 s15, s14
	s_addc_u32 s1, s3, s14
	s_xor_b64 s[22:23], s[0:1], s[14:15]
	v_readfirstlane_b32 s19, v1
	s_mul_i32 s1, s22, s6
	s_mul_hi_u32 s26, s22, s19
	s_mul_hi_u32 s0, s22, s6
	s_add_u32 s1, s26, s1
	s_addc_u32 s0, 0, s0
	s_mul_hi_u32 s27, s23, s19
	s_mul_i32 s19, s23, s19
	s_add_u32 s1, s1, s19
	s_mul_hi_u32 s26, s23, s6
	s_addc_u32 s0, s0, s27
	s_addc_u32 s1, s26, 0
	s_mul_i32 s6, s23, s6
	s_add_u32 s6, s0, s6
	s_addc_u32 s19, 0, s1
	s_mul_i32 s0, s12, s19
	s_mul_hi_u32 s1, s12, s6
	s_add_i32 s0, s1, s0
	s_mul_i32 s1, s13, s6
	s_add_i32 s26, s0, s1
	s_mul_i32 s1, s12, s6
	v_mov_b32_e32 v1, s1
	s_sub_i32 s0, s23, s26
	v_sub_co_u32_e32 v1, vcc, s22, v1
	s_cmp_lg_u64 vcc, 0
	s_subb_u32 s22, s0, s13
	v_subrev_co_u32_e64 v2, s[0:1], s12, v1
	s_cmp_lg_u64 s[0:1], 0
	s_subb_u32 s0, s22, 0
	s_cmp_ge_u32 s0, s13
	v_readfirstlane_b32 s22, v2
	s_cselect_b32 s1, -1, 0
	s_cmp_ge_u32 s22, s12
	s_cselect_b32 s22, -1, 0
	s_cmp_eq_u32 s0, s13
	s_cselect_b32 s0, s22, s1
	s_add_u32 s1, s6, 1
	s_addc_u32 s22, s19, 0
	s_add_u32 s27, s6, 2
	s_addc_u32 s28, s19, 0
	s_cmp_lg_u32 s0, 0
	s_cselect_b32 s0, s27, s1
	s_cselect_b32 s1, s28, s22
	s_cmp_lg_u64 vcc, 0
	s_subb_u32 s22, s23, s26
	s_cmp_ge_u32 s22, s13
	v_readfirstlane_b32 s26, v1
	s_cselect_b32 s23, -1, 0
	s_cmp_ge_u32 s26, s12
	s_cselect_b32 s12, -1, 0
	s_cmp_eq_u32 s22, s13
	s_cselect_b32 s12, s12, s23
	s_cmp_lg_u32 s12, 0
	s_cselect_b32 s1, s1, s19
	s_cselect_b32 s0, s0, s6
	s_xor_b64 s[10:11], s[14:15], s[10:11]
	s_xor_b64 s[0:1], s[0:1], s[10:11]
	s_sub_u32 s28, s0, s10
	s_subb_u32 s29, s1, s11
	s_cbranch_execnz .LBB3_3
.LBB3_2:
	v_cvt_f32_u32_e32 v1, s20
	s_sub_i32 s0, 0, s20
	s_mov_b32 s29, 0
	v_rcp_iflag_f32_e32 v1, v1
	v_mul_f32_e32 v1, 0x4f7ffffe, v1
	v_cvt_u32_f32_e32 v1, v1
	v_readfirstlane_b32 s1, v1
	s_mul_i32 s0, s0, s1
	s_mul_hi_u32 s0, s1, s0
	s_add_i32 s1, s1, s0
	s_mul_hi_u32 s0, s2, s1
	s_mul_i32 s6, s0, s20
	s_sub_i32 s6, s2, s6
	s_add_i32 s1, s0, 1
	s_sub_i32 s8, s6, s20
	s_cmp_ge_u32 s6, s20
	s_cselect_b32 s0, s1, s0
	s_cselect_b32 s6, s8, s6
	s_add_i32 s1, s0, 1
	s_cmp_ge_u32 s6, s20
	s_cselect_b32 s28, s1, s0
.LBB3_3:
	s_mul_i32 s0, s28, s21
	s_mul_hi_u32 s1, s28, s20
	s_add_i32 s0, s1, s0
	s_mul_i32 s1, s29, s20
	s_add_i32 s0, s0, s1
	s_mul_i32 s1, s28, s20
	s_sub_u32 s1, s2, s1
	s_subb_u32 s0, s3, s0
	s_ashr_i32 s6, s16, 31
	s_mul_i32 s8, s1, s6
	s_mul_hi_u32 s9, s1, s16
	s_add_i32 s8, s9, s8
	s_mul_i32 s0, s0, s16
	s_add_i32 s23, s8, s0
	s_mul_i32 s22, s1, s16
	s_or_b64 s[0:1], s[22:23], s[20:21]
	s_mov_b32 s0, 0
	s_cmp_lg_u64 s[0:1], 0
	s_cbranch_scc0 .LBB3_52
; %bb.4:
	s_add_u32 s0, s20, s21
	s_mov_b32 s10, s21
	s_mov_b32 s11, s21
	s_addc_u32 s1, s21, s21
	s_xor_b64 s[12:13], s[0:1], s[10:11]
	v_cvt_f32_u32_e32 v1, s12
	v_cvt_f32_u32_e32 v2, s13
	s_sub_u32 s0, 0, s12
	s_subb_u32 s1, 0, s13
	v_madmk_f32 v1, v2, 0x4f800000, v1
	v_rcp_f32_e32 v1, v1
	v_mul_f32_e32 v1, 0x5f7ffffc, v1
	v_mul_f32_e32 v2, 0x2f800000, v1
	v_trunc_f32_e32 v2, v2
	v_madmk_f32 v1, v2, 0xcf800000, v1
	v_cvt_u32_f32_e32 v2, v2
	v_cvt_u32_f32_e32 v1, v1
	v_readfirstlane_b32 s14, v2
	v_readfirstlane_b32 s15, v1
	s_mul_i32 s19, s0, s14
	s_mul_hi_u32 s27, s0, s15
	s_mul_i32 s26, s1, s15
	s_add_i32 s19, s27, s19
	s_add_i32 s19, s19, s26
	s_mul_i32 s30, s0, s15
	s_mul_hi_u32 s26, s15, s19
	s_mul_i32 s27, s15, s19
	s_mul_hi_u32 s15, s15, s30
	s_add_u32 s15, s15, s27
	s_addc_u32 s26, 0, s26
	s_mul_hi_u32 s31, s14, s30
	s_mul_i32 s30, s14, s30
	s_add_u32 s15, s15, s30
	s_mul_hi_u32 s27, s14, s19
	s_addc_u32 s15, s26, s31
	s_addc_u32 s26, s27, 0
	s_mul_i32 s19, s14, s19
	s_add_u32 s15, s15, s19
	s_addc_u32 s19, 0, s26
	v_add_co_u32_e32 v1, vcc, s15, v1
	s_cmp_lg_u64 vcc, 0
	s_addc_u32 s14, s14, s19
	v_readfirstlane_b32 s19, v1
	s_mul_i32 s15, s0, s14
	s_mul_hi_u32 s26, s0, s19
	s_add_i32 s15, s26, s15
	s_mul_i32 s1, s1, s19
	s_add_i32 s15, s15, s1
	s_mul_i32 s0, s0, s19
	s_mul_hi_u32 s26, s14, s0
	s_mul_i32 s27, s14, s0
	s_mul_i32 s31, s19, s15
	s_mul_hi_u32 s0, s19, s0
	s_mul_hi_u32 s30, s19, s15
	s_add_u32 s0, s0, s31
	s_addc_u32 s19, 0, s30
	s_add_u32 s0, s0, s27
	s_mul_hi_u32 s1, s14, s15
	s_addc_u32 s0, s19, s26
	s_addc_u32 s1, s1, 0
	s_mul_i32 s15, s14, s15
	s_add_u32 s0, s0, s15
	s_addc_u32 s1, 0, s1
	v_add_co_u32_e32 v1, vcc, s0, v1
	s_cmp_lg_u64 vcc, 0
	s_addc_u32 s19, s14, s1
	s_ashr_i32 s14, s23, 31
	s_add_u32 s0, s22, s14
	s_mov_b32 s15, s14
	s_addc_u32 s1, s23, s14
	s_xor_b64 s[26:27], s[0:1], s[14:15]
	v_readfirstlane_b32 s30, v1
	s_mul_i32 s1, s26, s19
	s_mul_hi_u32 s31, s26, s30
	s_mul_hi_u32 s0, s26, s19
	s_add_u32 s1, s31, s1
	s_addc_u32 s0, 0, s0
	s_mul_hi_u32 s33, s27, s30
	s_mul_i32 s30, s27, s30
	s_add_u32 s1, s1, s30
	s_mul_hi_u32 s31, s27, s19
	s_addc_u32 s0, s0, s33
	s_addc_u32 s1, s31, 0
	s_mul_i32 s19, s27, s19
	s_add_u32 s19, s0, s19
	s_addc_u32 s30, 0, s1
	s_mul_i32 s0, s12, s30
	s_mul_hi_u32 s1, s12, s19
	s_add_i32 s0, s1, s0
	s_mul_i32 s1, s13, s19
	s_add_i32 s31, s0, s1
	s_mul_i32 s1, s12, s19
	v_mov_b32_e32 v1, s1
	s_sub_i32 s0, s27, s31
	v_sub_co_u32_e32 v1, vcc, s26, v1
	s_cmp_lg_u64 vcc, 0
	s_subb_u32 s26, s0, s13
	v_subrev_co_u32_e64 v2, s[0:1], s12, v1
	s_cmp_lg_u64 s[0:1], 0
	s_subb_u32 s0, s26, 0
	s_cmp_ge_u32 s0, s13
	v_readfirstlane_b32 s26, v2
	s_cselect_b32 s1, -1, 0
	s_cmp_ge_u32 s26, s12
	s_cselect_b32 s26, -1, 0
	s_cmp_eq_u32 s0, s13
	s_cselect_b32 s0, s26, s1
	s_add_u32 s1, s19, 1
	s_addc_u32 s26, s30, 0
	s_add_u32 s33, s19, 2
	s_addc_u32 s34, s30, 0
	s_cmp_lg_u32 s0, 0
	s_cselect_b32 s0, s33, s1
	s_cselect_b32 s1, s34, s26
	s_cmp_lg_u64 vcc, 0
	s_subb_u32 s26, s27, s31
	s_cmp_ge_u32 s26, s13
	v_readfirstlane_b32 s31, v1
	s_cselect_b32 s27, -1, 0
	s_cmp_ge_u32 s31, s12
	s_cselect_b32 s12, -1, 0
	s_cmp_eq_u32 s26, s13
	s_cselect_b32 s12, s12, s27
	s_cmp_lg_u32 s12, 0
	s_cselect_b32 s1, s1, s30
	s_cselect_b32 s0, s0, s19
	s_xor_b64 s[10:11], s[14:15], s[10:11]
	s_xor_b64 s[0:1], s[0:1], s[10:11]
	s_sub_u32 s26, s0, s10
	s_subb_u32 s27, s1, s11
	s_load_dword s36, s[4:5], 0x64
	s_cbranch_execnz .LBB3_6
.LBB3_5:
	v_cvt_f32_u32_e32 v1, s20
	s_sub_i32 s0, 0, s20
	s_mov_b32 s27, 0
	v_rcp_iflag_f32_e32 v1, v1
	v_mul_f32_e32 v1, 0x4f7ffffe, v1
	v_cvt_u32_f32_e32 v1, v1
	v_readfirstlane_b32 s1, v1
	s_mul_i32 s0, s0, s1
	s_mul_hi_u32 s0, s1, s0
	s_add_i32 s1, s1, s0
	s_mul_hi_u32 s0, s22, s1
	s_mul_i32 s8, s0, s20
	s_sub_i32 s8, s22, s8
	s_add_i32 s1, s0, 1
	s_sub_i32 s9, s8, s20
	s_cmp_ge_u32 s8, s20
	s_cselect_b32 s0, s1, s0
	s_cselect_b32 s8, s9, s8
	s_add_i32 s1, s0, 1
	s_cmp_ge_u32 s8, s20
	s_cselect_b32 s26, s1, s0
.LBB3_6:
	s_waitcnt lgkmcnt(0)
	s_lshr_b32 s37, s36, 16
	s_mul_i32 s7, s7, s37
	v_bfe_u32 v1, v0, 10, 10
	v_add_u32_e32 v2, s7, v1
	v_cmp_gt_i32_e32 vcc, s24, v2
	s_and_saveexec_b64 s[0:1], vcc
	s_cbranch_execz .LBB3_50
; %bb.7:
	s_add_u32 s0, s22, s16
	s_addc_u32 s1, s23, s6
	s_load_dwordx8 s[8:15], s[4:5], 0x30
	s_add_u32 s6, s0, -1
	s_addc_u32 s7, s1, -1
	s_or_b64 s[0:1], s[6:7], s[20:21]
	s_mov_b32 s0, 0
	s_cmp_lg_u64 s[0:1], 0
	s_mov_b64 s[22:23], -1
	s_cbranch_scc0 .LBB3_53
; %bb.8:
	s_add_u32 s0, s20, s21
	s_mov_b32 s30, s21
	s_mov_b32 s31, s21
	s_addc_u32 s1, s21, s21
	s_xor_b64 s[34:35], s[0:1], s[30:31]
	v_cvt_f32_u32_e32 v1, s34
	v_cvt_f32_u32_e32 v3, s35
	s_sub_u32 s0, 0, s34
	s_subb_u32 s1, 0, s35
	v_madmk_f32 v1, v3, 0x4f800000, v1
	v_rcp_f32_e32 v1, v1
	v_mul_f32_e32 v1, 0x5f7ffffc, v1
	v_mul_f32_e32 v3, 0x2f800000, v1
	v_trunc_f32_e32 v3, v3
	v_madmk_f32 v1, v3, 0xcf800000, v1
	v_cvt_u32_f32_e32 v3, v3
	v_cvt_u32_f32_e32 v1, v1
	v_readfirstlane_b32 s16, v3
	v_readfirstlane_b32 s19, v1
	s_mul_i32 s21, s0, s16
	s_mul_hi_u32 s38, s0, s19
	s_mul_i32 s33, s1, s19
	s_add_i32 s21, s38, s21
	s_add_i32 s21, s21, s33
	s_mul_i32 s39, s0, s19
	s_mul_hi_u32 s33, s19, s21
	s_mul_i32 s38, s19, s21
	s_mul_hi_u32 s19, s19, s39
	s_add_u32 s19, s19, s38
	s_addc_u32 s33, 0, s33
	s_mul_hi_u32 s40, s16, s39
	s_mul_i32 s39, s16, s39
	s_add_u32 s19, s19, s39
	s_mul_hi_u32 s38, s16, s21
	s_addc_u32 s19, s33, s40
	s_addc_u32 s33, s38, 0
	s_mul_i32 s21, s16, s21
	s_add_u32 s19, s19, s21
	s_addc_u32 s21, 0, s33
	v_add_co_u32_e32 v1, vcc, s19, v1
	s_cmp_lg_u64 vcc, 0
	s_addc_u32 s16, s16, s21
	v_readfirstlane_b32 s21, v1
	s_mul_i32 s19, s0, s16
	s_mul_hi_u32 s33, s0, s21
	s_add_i32 s19, s33, s19
	s_mul_i32 s1, s1, s21
	s_add_i32 s19, s19, s1
	s_mul_i32 s0, s0, s21
	s_mul_hi_u32 s33, s16, s0
	s_mul_i32 s38, s16, s0
	s_mul_i32 s40, s21, s19
	s_mul_hi_u32 s0, s21, s0
	s_mul_hi_u32 s39, s21, s19
	s_add_u32 s0, s0, s40
	s_addc_u32 s21, 0, s39
	s_add_u32 s0, s0, s38
	s_mul_hi_u32 s1, s16, s19
	s_addc_u32 s0, s21, s33
	s_addc_u32 s1, s1, 0
	s_mul_i32 s19, s16, s19
	s_add_u32 s0, s0, s19
	s_addc_u32 s1, 0, s1
	v_add_co_u32_e32 v1, vcc, s0, v1
	s_cmp_lg_u64 vcc, 0
	s_addc_u32 s16, s16, s1
	s_ashr_i32 s38, s7, 31
	s_add_u32 s0, s6, s38
	s_mov_b32 s39, s38
	s_addc_u32 s1, s7, s38
	s_xor_b64 s[40:41], s[0:1], s[38:39]
	v_readfirstlane_b32 s7, v1
	s_mul_i32 s1, s40, s16
	s_mul_hi_u32 s19, s40, s7
	s_mul_hi_u32 s0, s40, s16
	s_add_u32 s1, s19, s1
	s_addc_u32 s0, 0, s0
	s_mul_hi_u32 s21, s41, s7
	s_mul_i32 s7, s41, s7
	s_add_u32 s1, s1, s7
	s_mul_hi_u32 s19, s41, s16
	s_addc_u32 s0, s0, s21
	s_addc_u32 s1, s19, 0
	s_mul_i32 s7, s41, s16
	s_add_u32 s7, s0, s7
	s_addc_u32 s0, 0, s1
	s_mul_i32 s0, s34, s0
	s_mul_hi_u32 s1, s34, s7
	s_add_i32 s0, s1, s0
	s_mul_i32 s1, s35, s7
	s_add_i32 s16, s0, s1
	s_mul_i32 s1, s34, s7
	v_mov_b32_e32 v1, s1
	s_sub_i32 s0, s41, s16
	v_sub_co_u32_e32 v1, vcc, s40, v1
	s_cmp_lg_u64 vcc, 0
	s_subb_u32 s19, s0, s35
	v_subrev_co_u32_e64 v3, s[0:1], s34, v1
	s_cmp_lg_u64 s[0:1], 0
	s_subb_u32 s19, s19, 0
	s_cmp_ge_u32 s19, s35
	s_cselect_b32 s21, -1, 0
	v_cmp_le_u32_e64 s[0:1], s34, v3
	s_cmp_eq_u32 s19, s35
	v_cndmask_b32_e64 v3, 0, -1, s[0:1]
	v_mov_b32_e32 v4, s21
	s_cselect_b64 s[0:1], -1, 0
	v_cndmask_b32_e64 v3, v4, v3, s[0:1]
	s_add_u32 s0, s7, 1
	s_add_u32 s1, s7, 2
	v_mov_b32_e32 v4, s0
	v_mov_b32_e32 v5, s1
	v_cmp_ne_u32_e64 s[0:1], 0, v3
	s_cmp_lg_u64 vcc, 0
	v_cndmask_b32_e64 v3, v4, v5, s[0:1]
	s_subb_u32 s0, s41, s16
	s_cmp_ge_u32 s0, s35
	s_cselect_b32 s1, -1, 0
	v_cmp_le_u32_e32 vcc, s34, v1
	s_cmp_eq_u32 s0, s35
	v_cndmask_b32_e64 v1, 0, -1, vcc
	v_mov_b32_e32 v4, s1
	s_cselect_b64 vcc, -1, 0
	v_cndmask_b32_e32 v1, v4, v1, vcc
	v_mov_b32_e32 v4, s7
	v_cmp_ne_u32_e32 vcc, 0, v1
	v_cndmask_b32_e32 v1, v4, v3, vcc
	s_xor_b64 s[0:1], s[38:39], s[30:31]
	v_xor_b32_e32 v1, s0, v1
	v_subrev_co_u32_e32 v4, vcc, s0, v1
	s_load_dword s48, s[4:5], 0x5c
	s_cbranch_execnz .LBB3_10
.LBB3_9:
	v_cvt_f32_u32_e32 v1, s20
	s_sub_i32 s0, 0, s20
	v_rcp_iflag_f32_e32 v1, v1
	v_mul_f32_e32 v1, 0x4f7ffffe, v1
	v_cvt_u32_f32_e32 v1, v1
	v_mul_lo_u32 v3, s0, v1
	v_mul_hi_u32 v3, v1, v3
	v_add_u32_e32 v1, v1, v3
	v_mul_hi_u32 v1, s6, v1
	v_mul_lo_u32 v4, v1, s20
	v_sub_u32_e32 v4, s6, v4
	v_add_u32_e32 v3, 1, v1
	v_subrev_u32_e32 v5, s20, v4
	v_cmp_le_u32_e32 vcc, s20, v4
	v_cndmask_b32_e32 v4, v4, v5, vcc
	v_cndmask_b32_e32 v1, v1, v3, vcc
	v_add_u32_e32 v3, 1, v1
	v_cmp_le_u32_e32 vcc, s20, v4
	v_cndmask_b32_e32 v4, v1, v3, vcc
.LBB3_10:
	s_bfe_i64 s[6:7], s[26:27], 0x200000
	s_load_dwordx4 s[20:23], s[4:5], 0x0
	s_load_dwordx2 s[0:1], s[4:5], 0x10
	s_bfe_i64 s[4:5], s[28:29], 0x200000
	s_mul_i32 s6, s25, s24
	s_mul_hi_i32 s4, s25, s24
	s_mul_i32 s3, s6, s3
	s_mul_hi_u32 s29, s6, s2
	s_add_i32 s3, s29, s3
	s_mul_i32 s4, s4, s2
	s_add_i32 s3, s3, s4
	s_mul_i32 s2, s6, s2
	s_ashr_i32 s16, s24, 31
	s_ashr_i32 s27, s25, 31
	s_lshl_b64 s[30:31], s[2:3], 1
	s_waitcnt lgkmcnt(0)
	s_add_u32 s44, s22, s30
	s_addc_u32 s45, s23, s31
	s_lshl_b64 s[2:3], s[2:3], 3
	s_mov_b32 s19, s24
	s_add_u32 s46, s0, s2
	v_and_b32_e32 v18, 0x3ff, v0
	v_subrev_u32_e32 v0, s26, v4
	s_brev_b32 s2, -2
	s_addc_u32 s47, s1, s3
	v_add_u32_e32 v1, 1, v0
	v_cmp_gt_u32_e64 s[2:3], s2, v0
	v_cvt_f32_u32_e32 v0, s19
	s_mul_hi_u32 s4, s10, s26
	s_mul_i32 s6, s10, s7
	s_add_i32 s4, s4, s6
	s_mul_i32 s6, s11, s26
	v_rcp_iflag_f32_e32 v0, v0
	s_add_i32 s7, s4, s6
	s_mul_hi_u32 s4, s8, s28
	s_mul_i32 s5, s8, s5
	s_add_i32 s4, s4, s5
	s_mul_i32 s5, s9, s28
	s_mul_i32 s6, s10, s26
	s_add_i32 s5, s4, s5
	s_mul_i32 s4, s8, s28
	s_and_b32 s49, s36, 0xffff
	s_ashr_i32 s50, s17, 31
	s_ashr_i32 s52, s18, 31
	s_lshl_b64 s[6:7], s[6:7], 1
	s_lshl_b64 s[4:5], s[4:5], 1
	v_mul_f32_e32 v0, 0x4f7ffffe, v0
	s_add_u32 s4, s6, s4
	v_cvt_u32_f32_e32 v20, v0
	s_addc_u32 s5, s7, s5
	s_add_u32 s20, s20, s4
	s_mov_b32 s33, s25
	s_mul_i32 s48, s48, s37
	s_mov_b32 s51, s17
	v_cmp_gt_i32_e64 s[0:1], s25, v18
	s_mul_i32 s53, s26, s17
	v_max_i32_e32 v19, 1, v1
	s_addc_u32 s21, s21, s5
	s_lshl_b64 s[12:13], s[12:13], 1
	s_lshl_b64 s[14:15], s[14:15], 1
	s_lshl_b64 s[22:23], s[10:11], 1
	s_mul_i32 s54, s18, s17
	s_mov_b64 s[28:29], 0
	v_mov_b32_e32 v1, 0
	s_branch .LBB3_12
.LBB3_11:                               ;   in Loop: Header=BB3_12 Depth=1
	s_or_b64 exec, exec, s[30:31]
	v_add_u32_e32 v2, s48, v2
	v_cmp_le_i32_e32 vcc, s24, v2
	s_or_b64 s[28:29], vcc, s[28:29]
	s_andn2_b64 exec, exec, s[28:29]
	s_cbranch_execz .LBB3_50
.LBB3_12:                               ; =>This Loop Header: Depth=1
                                        ;     Child Loop BB3_27 Depth 2
                                        ;       Child Loop BB3_43 Depth 3
                                        ;         Child Loop BB3_46 Depth 4
                                        ;           Child Loop BB3_48 Depth 5
	v_ashrrev_i32_e32 v3, 31, v2
	v_or_b32_e32 v5, s16, v3
	v_mov_b32_e32 v4, v1
	v_cmp_ne_u64_e32 vcc, 0, v[4:5]
                                        ; implicit-def: $vgpr6_vgpr7
	s_and_saveexec_b64 s[4:5], vcc
	s_xor_b64 s[4:5], exec, s[4:5]
	s_cbranch_execz .LBB3_14
; %bb.13:                               ;   in Loop: Header=BB3_12 Depth=1
	s_ashr_i32 s6, s19, 31
	s_add_i32 s7, s19, s6
	s_xor_b32 s7, s7, s6
	v_cvt_f32_u32_e32 v0, s7
	s_sub_i32 s8, 0, s7
	v_ashrrev_i32_e32 v4, 31, v2
	v_add_u32_e32 v5, v2, v4
	v_rcp_iflag_f32_e32 v0, v0
	v_xor_b32_e32 v5, v5, v4
	v_xor_b32_e32 v4, s6, v4
	v_mul_f32_e32 v0, 0x4f7ffffe, v0
	v_cvt_u32_f32_e32 v0, v0
	v_mul_lo_u32 v6, s8, v0
	v_mul_hi_u32 v6, v0, v6
	v_add_u32_e32 v0, v0, v6
	v_mul_hi_u32 v0, v5, v0
	v_mul_lo_u32 v6, v0, s7
	v_sub_u32_e32 v5, v5, v6
	v_add_u32_e32 v7, 1, v0
	v_subrev_u32_e32 v6, s7, v5
	v_cmp_le_u32_e32 vcc, s7, v5
	v_cndmask_b32_e32 v5, v5, v6, vcc
	v_cndmask_b32_e32 v0, v0, v7, vcc
	v_add_u32_e32 v6, 1, v0
	v_cmp_le_u32_e32 vcc, s7, v5
	v_cndmask_b32_e32 v0, v0, v6, vcc
	v_xor_b32_e32 v0, v0, v4
	v_sub_u32_e32 v6, v0, v4
	v_ashrrev_i32_e32 v7, 31, v6
.LBB3_14:                               ;   in Loop: Header=BB3_12 Depth=1
	s_andn2_saveexec_b64 s[4:5], s[4:5]
	s_cbranch_execz .LBB3_16
; %bb.15:                               ;   in Loop: Header=BB3_12 Depth=1
	s_sub_i32 s6, 0, s19
	v_mul_lo_u32 v0, s6, v20
	v_mul_hi_u32 v0, v20, v0
	v_add_u32_e32 v0, v20, v0
	v_mul_hi_u32 v0, v2, v0
	v_mul_lo_u32 v4, v0, s19
	v_sub_u32_e32 v4, v2, v4
	v_subrev_u32_e32 v5, s19, v4
	v_cmp_le_u32_e32 vcc, s19, v4
	v_cndmask_b32_e32 v4, v4, v5, vcc
	v_add_u32_e32 v5, 1, v0
	v_cndmask_b32_e32 v0, v0, v5, vcc
	v_add_u32_e32 v5, 1, v0
	v_cmp_le_u32_e32 vcc, s19, v4
	v_cndmask_b32_e32 v0, v0, v5, vcc
	v_pk_mov_b32 v[6:7], v[0:1], v[0:1] op_sel:[0,1]
.LBB3_16:                               ;   in Loop: Header=BB3_12 Depth=1
	s_or_b64 exec, exec, s[4:5]
	v_mul_lo_u32 v0, v7, s19
	v_mul_lo_u32 v7, v6, s16
	v_mad_u64_u32 v[4:5], s[4:5], v6, s19, 0
	v_add3_u32 v0, v5, v7, v0
	v_sub_co_u32_e32 v4, vcc, v2, v4
	v_subb_co_u32_e32 v0, vcc, v3, v0, vcc
	v_mul_lo_u32 v0, v0, s51
	v_mul_lo_u32 v7, v4, s50
	v_mad_u64_u32 v[4:5], s[4:5], v4, s51, 0
	v_add3_u32 v5, v5, v7, v0
	v_or_b32_e32 v9, s16, v5
	v_mov_b32_e32 v8, v1
	v_cmp_ne_u64_e32 vcc, 0, v[8:9]
                                        ; implicit-def: $vgpr8_vgpr9
	s_and_saveexec_b64 s[4:5], vcc
	s_xor_b64 s[6:7], exec, s[4:5]
	s_cbranch_execz .LBB3_18
; %bb.17:                               ;   in Loop: Header=BB3_12 Depth=1
	s_add_u32 s4, s19, s16
	s_mov_b32 s8, s16
	s_mov_b32 s9, s16
	s_addc_u32 s5, s16, s16
	s_xor_b64 s[10:11], s[4:5], s[8:9]
	v_cvt_f32_u32_e32 v0, s10
	v_cvt_f32_u32_e32 v7, s11
	s_sub_u32 s4, 0, s10
	s_subb_u32 s5, 0, s11
	v_mac_f32_e32 v0, 0x4f800000, v7
	v_rcp_f32_e32 v0, v0
	v_mul_f32_e32 v0, 0x5f7ffffc, v0
	v_mul_f32_e32 v7, 0x2f800000, v0
	v_trunc_f32_e32 v7, v7
	v_mac_f32_e32 v0, 0xcf800000, v7
	v_cvt_u32_f32_e32 v7, v7
	v_cvt_u32_f32_e32 v0, v0
	v_mul_lo_u32 v8, s4, v7
	v_mul_hi_u32 v10, s4, v0
	v_mul_lo_u32 v9, s5, v0
	v_add_u32_e32 v8, v10, v8
	v_mul_lo_u32 v11, s4, v0
	v_add_u32_e32 v8, v8, v9
	v_mul_lo_u32 v10, v0, v8
	v_mul_hi_u32 v12, v0, v11
	v_mul_hi_u32 v9, v0, v8
	v_add_co_u32_e32 v10, vcc, v12, v10
	v_addc_co_u32_e32 v9, vcc, 0, v9, vcc
	v_mul_hi_u32 v13, v7, v11
	v_mul_lo_u32 v11, v7, v11
	v_add_co_u32_e32 v10, vcc, v10, v11
	v_mul_hi_u32 v12, v7, v8
	v_addc_co_u32_e32 v9, vcc, v9, v13, vcc
	v_addc_co_u32_e32 v10, vcc, 0, v12, vcc
	v_mul_lo_u32 v8, v7, v8
	v_add_co_u32_e32 v8, vcc, v9, v8
	v_addc_co_u32_e32 v9, vcc, 0, v10, vcc
	v_add_co_u32_e32 v0, vcc, v0, v8
	v_addc_co_u32_e32 v7, vcc, v7, v9, vcc
	v_mul_lo_u32 v8, s4, v7
	v_mul_hi_u32 v9, s4, v0
	v_add_u32_e32 v8, v9, v8
	v_mul_lo_u32 v9, s5, v0
	v_add_u32_e32 v8, v8, v9
	v_mul_lo_u32 v10, s4, v0
	v_mul_hi_u32 v11, v7, v10
	v_mul_lo_u32 v12, v7, v10
	v_mul_lo_u32 v14, v0, v8
	v_mul_hi_u32 v10, v0, v10
	v_mul_hi_u32 v13, v0, v8
	v_add_co_u32_e32 v10, vcc, v10, v14
	v_addc_co_u32_e32 v13, vcc, 0, v13, vcc
	v_add_co_u32_e32 v10, vcc, v10, v12
	v_mul_hi_u32 v9, v7, v8
	v_addc_co_u32_e32 v10, vcc, v13, v11, vcc
	v_addc_co_u32_e32 v9, vcc, 0, v9, vcc
	v_mul_lo_u32 v8, v7, v8
	v_add_co_u32_e32 v8, vcc, v10, v8
	v_addc_co_u32_e32 v9, vcc, 0, v9, vcc
	v_add_co_u32_e32 v0, vcc, v0, v8
	v_addc_co_u32_e32 v7, vcc, v7, v9, vcc
	v_ashrrev_i32_e32 v10, 31, v5
	v_add_co_u32_e32 v4, vcc, v4, v10
	v_addc_co_u32_e32 v5, vcc, v5, v10, vcc
	v_xor_b32_e32 v12, v4, v10
	v_xor_b32_e32 v11, v5, v10
	v_mad_u64_u32 v[4:5], s[4:5], v12, v7, 0
	v_mul_hi_u32 v8, v12, v0
	v_add_co_u32_e32 v13, vcc, v8, v4
	v_addc_co_u32_e32 v14, vcc, 0, v5, vcc
	v_mad_u64_u32 v[8:9], s[4:5], v11, v0, 0
	v_add_co_u32_e32 v0, vcc, v13, v8
	v_mad_u64_u32 v[4:5], s[4:5], v11, v7, 0
	v_addc_co_u32_e32 v0, vcc, v14, v9, vcc
	v_addc_co_u32_e32 v5, vcc, 0, v5, vcc
	v_add_co_u32_e32 v0, vcc, v0, v4
	v_addc_co_u32_e32 v7, vcc, 0, v5, vcc
	v_mul_lo_u32 v8, s11, v0
	v_mul_lo_u32 v9, s10, v7
	v_mad_u64_u32 v[4:5], s[4:5], s10, v0, 0
	v_add3_u32 v5, v5, v9, v8
	v_sub_u32_e32 v8, v11, v5
	v_mov_b32_e32 v9, s11
	v_sub_co_u32_e32 v4, vcc, v12, v4
	v_subb_co_u32_e64 v8, s[4:5], v8, v9, vcc
	v_subrev_co_u32_e64 v9, s[4:5], s10, v4
	v_subbrev_co_u32_e64 v8, s[4:5], 0, v8, s[4:5]
	v_cmp_le_u32_e64 s[4:5], s11, v8
	v_cndmask_b32_e64 v12, 0, -1, s[4:5]
	v_cmp_le_u32_e64 s[4:5], s10, v9
	v_cndmask_b32_e64 v9, 0, -1, s[4:5]
	v_cmp_eq_u32_e64 s[4:5], s11, v8
	v_cndmask_b32_e64 v8, v12, v9, s[4:5]
	v_add_co_u32_e64 v9, s[4:5], 2, v0
	v_subb_co_u32_e32 v5, vcc, v11, v5, vcc
	v_addc_co_u32_e64 v12, s[4:5], 0, v7, s[4:5]
	v_cmp_le_u32_e32 vcc, s11, v5
	v_add_co_u32_e64 v13, s[4:5], 1, v0
	v_cndmask_b32_e64 v11, 0, -1, vcc
	v_cmp_le_u32_e32 vcc, s10, v4
	v_addc_co_u32_e64 v14, s[4:5], 0, v7, s[4:5]
	v_cndmask_b32_e64 v4, 0, -1, vcc
	v_cmp_eq_u32_e32 vcc, s11, v5
	v_cmp_ne_u32_e64 s[4:5], 0, v8
	v_cndmask_b32_e32 v4, v11, v4, vcc
	v_cndmask_b32_e64 v8, v14, v12, s[4:5]
	v_cmp_ne_u32_e32 vcc, 0, v4
	v_cndmask_b32_e64 v5, v13, v9, s[4:5]
	v_cndmask_b32_e32 v4, v7, v8, vcc
	v_cndmask_b32_e32 v0, v0, v5, vcc
	v_xor_b32_e32 v7, s8, v10
	v_xor_b32_e32 v5, s9, v10
	;; [unrolled: 1-line block ×4, first 2 shown]
	v_sub_co_u32_e32 v8, vcc, v0, v7
	v_subb_co_u32_e32 v9, vcc, v4, v5, vcc
                                        ; implicit-def: $vgpr4_vgpr5
.LBB3_18:                               ;   in Loop: Header=BB3_12 Depth=1
	s_andn2_saveexec_b64 s[4:5], s[6:7]
	s_cbranch_execz .LBB3_20
; %bb.19:                               ;   in Loop: Header=BB3_12 Depth=1
	s_sub_i32 s6, 0, s19
	v_mul_lo_u32 v0, s6, v20
	v_mul_hi_u32 v0, v20, v0
	v_add_u32_e32 v0, v20, v0
	v_mul_hi_u32 v0, v4, v0
	v_mul_lo_u32 v5, v0, s19
	v_sub_u32_e32 v4, v4, v5
	v_subrev_u32_e32 v5, s19, v4
	v_cmp_le_u32_e32 vcc, s19, v4
	v_cndmask_b32_e32 v4, v4, v5, vcc
	v_add_u32_e32 v5, 1, v0
	v_cndmask_b32_e32 v0, v0, v5, vcc
	v_add_u32_e32 v5, 1, v0
	v_cmp_le_u32_e32 vcc, s19, v4
	v_cndmask_b32_e32 v0, v0, v5, vcc
	v_pk_mov_b32 v[8:9], v[0:1], v[0:1] op_sel:[0,1]
.LBB3_20:                               ;   in Loop: Header=BB3_12 Depth=1
	s_or_b64 exec, exec, s[4:5]
	v_add_co_u32_e32 v0, vcc, 1, v2
	v_addc_co_u32_e32 v3, vcc, 0, v3, vcc
	v_mul_lo_u32 v7, v0, s50
	v_mul_lo_u32 v3, v3, s51
	v_mad_u64_u32 v[4:5], s[4:5], v0, s51, -1
	v_add3_u32 v5, v3, v5, v7
	v_or_b32_e32 v11, s16, v5
	v_mov_b32_e32 v10, v1
	v_cmp_ne_u64_e32 vcc, 0, v[10:11]
                                        ; implicit-def: $vgpr10_vgpr11
	s_and_saveexec_b64 s[4:5], vcc
	s_xor_b64 s[6:7], exec, s[4:5]
	s_cbranch_execnz .LBB3_23
; %bb.21:                               ;   in Loop: Header=BB3_12 Depth=1
	s_andn2_saveexec_b64 s[4:5], s[6:7]
	s_cbranch_execnz .LBB3_24
.LBB3_22:                               ;   in Loop: Header=BB3_12 Depth=1
	s_or_b64 exec, exec, s[4:5]
	s_and_saveexec_b64 s[30:31], s[0:1]
	s_cbranch_execz .LBB3_11
	s_branch .LBB3_25
.LBB3_23:                               ;   in Loop: Header=BB3_12 Depth=1
	s_add_u32 s4, s19, s16
	s_mov_b32 s8, s16
	s_mov_b32 s9, s16
	s_addc_u32 s5, s16, s16
	s_xor_b64 s[10:11], s[4:5], s[8:9]
	v_cvt_f32_u32_e32 v0, s10
	v_cvt_f32_u32_e32 v3, s11
	s_sub_u32 s4, 0, s10
	s_subb_u32 s5, 0, s11
	v_mac_f32_e32 v0, 0x4f800000, v3
	v_rcp_f32_e32 v0, v0
	v_mul_f32_e32 v0, 0x5f7ffffc, v0
	v_mul_f32_e32 v3, 0x2f800000, v0
	v_trunc_f32_e32 v3, v3
	v_mac_f32_e32 v0, 0xcf800000, v3
	v_cvt_u32_f32_e32 v3, v3
	v_cvt_u32_f32_e32 v0, v0
	v_mul_lo_u32 v7, s4, v3
	v_mul_hi_u32 v11, s4, v0
	v_mul_lo_u32 v10, s5, v0
	v_add_u32_e32 v7, v11, v7
	v_mul_lo_u32 v12, s4, v0
	v_add_u32_e32 v7, v7, v10
	v_mul_lo_u32 v11, v0, v7
	v_mul_hi_u32 v13, v0, v12
	v_mul_hi_u32 v10, v0, v7
	v_add_co_u32_e32 v11, vcc, v13, v11
	v_addc_co_u32_e32 v10, vcc, 0, v10, vcc
	v_mul_hi_u32 v14, v3, v12
	v_mul_lo_u32 v12, v3, v12
	v_add_co_u32_e32 v11, vcc, v11, v12
	v_mul_hi_u32 v13, v3, v7
	v_addc_co_u32_e32 v10, vcc, v10, v14, vcc
	v_addc_co_u32_e32 v11, vcc, 0, v13, vcc
	v_mul_lo_u32 v7, v3, v7
	v_add_co_u32_e32 v7, vcc, v10, v7
	v_addc_co_u32_e32 v10, vcc, 0, v11, vcc
	v_add_co_u32_e32 v0, vcc, v0, v7
	v_addc_co_u32_e32 v3, vcc, v3, v10, vcc
	v_mul_lo_u32 v7, s4, v3
	v_mul_hi_u32 v10, s4, v0
	v_add_u32_e32 v7, v10, v7
	v_mul_lo_u32 v10, s5, v0
	v_add_u32_e32 v7, v7, v10
	v_mul_lo_u32 v11, s4, v0
	v_mul_hi_u32 v12, v3, v11
	v_mul_lo_u32 v13, v3, v11
	v_mul_lo_u32 v15, v0, v7
	v_mul_hi_u32 v11, v0, v11
	v_mul_hi_u32 v14, v0, v7
	v_add_co_u32_e32 v11, vcc, v11, v15
	v_addc_co_u32_e32 v14, vcc, 0, v14, vcc
	v_add_co_u32_e32 v11, vcc, v11, v13
	v_mul_hi_u32 v10, v3, v7
	v_addc_co_u32_e32 v11, vcc, v14, v12, vcc
	v_addc_co_u32_e32 v10, vcc, 0, v10, vcc
	v_mul_lo_u32 v7, v3, v7
	v_add_co_u32_e32 v7, vcc, v11, v7
	v_addc_co_u32_e32 v10, vcc, 0, v10, vcc
	v_add_co_u32_e32 v0, vcc, v0, v7
	v_addc_co_u32_e32 v3, vcc, v3, v10, vcc
	v_ashrrev_i32_e32 v7, 31, v5
	v_add_co_u32_e32 v4, vcc, v4, v7
	v_addc_co_u32_e32 v5, vcc, v5, v7, vcc
	v_xor_b32_e32 v13, v4, v7
	v_xor_b32_e32 v12, v5, v7
	v_mad_u64_u32 v[4:5], s[4:5], v13, v3, 0
	v_mul_hi_u32 v10, v13, v0
	v_add_co_u32_e32 v14, vcc, v10, v4
	v_addc_co_u32_e32 v15, vcc, 0, v5, vcc
	v_mad_u64_u32 v[10:11], s[4:5], v12, v0, 0
	v_add_co_u32_e32 v0, vcc, v14, v10
	v_mad_u64_u32 v[4:5], s[4:5], v12, v3, 0
	v_addc_co_u32_e32 v0, vcc, v15, v11, vcc
	v_addc_co_u32_e32 v3, vcc, 0, v5, vcc
	v_add_co_u32_e32 v0, vcc, v0, v4
	v_addc_co_u32_e32 v3, vcc, 0, v3, vcc
	v_mul_lo_u32 v10, s11, v0
	v_mul_lo_u32 v3, s10, v3
	v_mad_u64_u32 v[4:5], s[4:5], s10, v0, 0
	v_add3_u32 v3, v5, v3, v10
	v_sub_u32_e32 v5, v12, v3
	v_mov_b32_e32 v10, s11
	v_sub_co_u32_e32 v4, vcc, v13, v4
	v_subb_co_u32_e64 v5, s[4:5], v5, v10, vcc
	v_subrev_co_u32_e64 v10, s[4:5], s10, v4
	v_subbrev_co_u32_e64 v5, s[4:5], 0, v5, s[4:5]
	v_cmp_le_u32_e64 s[4:5], s11, v5
	v_subb_co_u32_e32 v3, vcc, v12, v3, vcc
	v_cndmask_b32_e64 v11, 0, -1, s[4:5]
	v_cmp_le_u32_e64 s[4:5], s10, v10
	v_cmp_le_u32_e32 vcc, s11, v3
	v_cndmask_b32_e64 v10, 0, -1, s[4:5]
	v_cmp_eq_u32_e64 s[4:5], s11, v5
	v_cndmask_b32_e64 v12, 0, -1, vcc
	v_cmp_le_u32_e32 vcc, s10, v4
	v_cndmask_b32_e64 v5, v11, v10, s[4:5]
	v_cndmask_b32_e64 v4, 0, -1, vcc
	v_cmp_eq_u32_e32 vcc, s11, v3
	v_add_co_u32_e64 v10, s[4:5], 2, v0
	v_add_co_u32_e64 v11, s[4:5], 1, v0
	v_cndmask_b32_e32 v3, v12, v4, vcc
	v_cmp_ne_u32_e32 vcc, 0, v5
	v_cndmask_b32_e32 v4, v11, v10, vcc
	v_cmp_ne_u32_e32 vcc, 0, v3
	v_cndmask_b32_e32 v0, v0, v4, vcc
	v_xor_b32_e32 v3, s8, v7
	v_xor_b32_e32 v0, v0, v3
	v_sub_co_u32_e32 v10, vcc, v0, v3
                                        ; implicit-def: $vgpr4_vgpr5
	s_andn2_saveexec_b64 s[4:5], s[6:7]
	s_cbranch_execz .LBB3_22
.LBB3_24:                               ;   in Loop: Header=BB3_12 Depth=1
	s_sub_i32 s6, 0, s19
	v_mul_lo_u32 v0, s6, v20
	v_mul_hi_u32 v0, v20, v0
	v_add_u32_e32 v0, v20, v0
	v_mul_hi_u32 v0, v4, v0
	v_mul_lo_u32 v3, v0, s19
	v_sub_u32_e32 v3, v4, v3
	v_subrev_u32_e32 v4, s19, v3
	v_cmp_le_u32_e32 vcc, s19, v3
	v_cndmask_b32_e32 v3, v3, v4, vcc
	v_add_u32_e32 v4, 1, v0
	v_cndmask_b32_e32 v0, v0, v4, vcc
	v_add_u32_e32 v4, 1, v0
	v_cmp_le_u32_e32 vcc, s19, v3
	v_cndmask_b32_e32 v10, v0, v4, vcc
	s_or_b64 exec, exec, s[4:5]
	s_and_saveexec_b64 s[30:31], s[0:1]
	s_cbranch_execz .LBB3_11
.LBB3_25:                               ;   in Loop: Header=BB3_12 Depth=1
	v_mad_u64_u32 v[4:5], s[4:5], v6, s51, v[8:9]
	v_sub_u32_e32 v0, v10, v4
	v_mul_lo_u32 v10, v2, s25
	v_ashrrev_i32_e32 v11, 31, v10
	v_lshlrev_b64 v[12:13], 1, v[10:11]
	v_mov_b32_e32 v5, s45
	v_add_co_u32_e32 v21, vcc, s44, v12
	v_addc_co_u32_e32 v22, vcc, v5, v13, vcc
	v_lshlrev_b64 v[10:11], 3, v[10:11]
	v_mov_b32_e32 v5, s47
	v_add_co_u32_e32 v23, vcc, s46, v10
	v_add_u32_e32 v3, 1, v0
	v_ashrrev_i32_e32 v0, 31, v4
	v_addc_co_u32_e32 v24, vcc, v5, v11, vcc
	v_add_u32_e32 v5, s53, v4
	v_pk_mov_b32 v[10:11], s[20:21], s[20:21] op_sel:[0,1]
	v_mul_lo_u32 v25, v5, s18
	v_mul_lo_u32 v0, s12, v0
	;; [unrolled: 1-line block ×3, first 2 shown]
	v_mad_u64_u32 v[4:5], s[6:7], s12, v4, v[10:11]
	v_add3_u32 v5, v7, v5, v0
	v_add_u32_e32 v0, s26, v6
	v_cmp_lt_i32_e64 s[4:5], 0, v3
	v_mad_u64_u32 v[6:7], s[6:7], s17, v0, v[8:9]
	s_mov_b64 s[34:35], 0
	v_mov_b32_e32 v0, v18
	s_branch .LBB3_27
.LBB3_26:                               ;   in Loop: Header=BB3_27 Depth=2
	v_lshlrev_b64 v[8:9], 1, v[0:1]
	v_add_co_u32_e32 v8, vcc, v21, v8
	v_addc_co_u32_e32 v9, vcc, v22, v9, vcc
	v_lshlrev_b64 v[10:11], 3, v[0:1]
	v_add_co_u32_e32 v10, vcc, v23, v10
	v_addc_co_u32_e32 v11, vcc, v24, v11, vcc
	v_add_u32_e32 v0, s49, v0
	v_cmp_le_i32_e32 vcc, s25, v0
	s_or_b64 s[34:35], vcc, s[34:35]
	global_store_short v[8:9], v7, off
	global_store_dwordx2 v[10:11], v[12:13], off
	s_andn2_b64 exec, exec, s[34:35]
	s_cbranch_execz .LBB3_11
.LBB3_27:                               ;   Parent Loop BB3_12 Depth=1
                                        ; =>  This Loop Header: Depth=2
                                        ;       Child Loop BB3_43 Depth 3
                                        ;         Child Loop BB3_46 Depth 4
                                        ;           Child Loop BB3_48 Depth 5
	v_or_b32_e64 v9, 0, s27
	v_mov_b32_e32 v8, v1
	v_cmp_ne_u64_e32 vcc, 0, v[8:9]
                                        ; implicit-def: $vgpr8_vgpr9
	s_and_saveexec_b64 s[6:7], vcc
	s_xor_b64 s[8:9], exec, s[6:7]
	s_cbranch_execz .LBB3_29
; %bb.28:                               ;   in Loop: Header=BB3_27 Depth=2
	s_add_u32 s6, s33, s27
	s_mov_b32 s10, s27
	s_mov_b32 s11, s27
	s_addc_u32 s7, s27, s27
	s_xor_b64 s[36:37], s[6:7], s[10:11]
	v_cvt_f32_u32_e32 v7, s36
	v_cvt_f32_u32_e32 v8, s37
	s_sub_u32 s6, 0, s36
	s_subb_u32 s7, 0, s37
	v_mac_f32_e32 v7, 0x4f800000, v8
	v_rcp_f32_e32 v7, v7
	v_mul_f32_e32 v7, 0x5f7ffffc, v7
	v_mul_f32_e32 v8, 0x2f800000, v7
	v_trunc_f32_e32 v8, v8
	v_mac_f32_e32 v7, 0xcf800000, v8
	v_cvt_u32_f32_e32 v8, v8
	v_cvt_u32_f32_e32 v7, v7
	v_mul_lo_u32 v9, s6, v8
	v_mul_hi_u32 v11, s6, v7
	v_mul_lo_u32 v10, s7, v7
	v_add_u32_e32 v9, v11, v9
	v_mul_lo_u32 v12, s6, v7
	v_add_u32_e32 v9, v9, v10
	v_mul_lo_u32 v11, v7, v9
	v_mul_hi_u32 v13, v7, v12
	v_mul_hi_u32 v10, v7, v9
	v_add_co_u32_e32 v11, vcc, v13, v11
	v_addc_co_u32_e32 v10, vcc, 0, v10, vcc
	v_mul_hi_u32 v14, v8, v12
	v_mul_lo_u32 v12, v8, v12
	v_add_co_u32_e32 v11, vcc, v11, v12
	v_mul_hi_u32 v13, v8, v9
	v_addc_co_u32_e32 v10, vcc, v10, v14, vcc
	v_addc_co_u32_e32 v11, vcc, 0, v13, vcc
	v_mul_lo_u32 v9, v8, v9
	v_add_co_u32_e32 v9, vcc, v10, v9
	v_addc_co_u32_e32 v10, vcc, 0, v11, vcc
	v_add_co_u32_e32 v7, vcc, v7, v9
	v_addc_co_u32_e32 v8, vcc, v8, v10, vcc
	v_mul_lo_u32 v9, s6, v8
	v_mul_hi_u32 v10, s6, v7
	v_add_u32_e32 v9, v10, v9
	v_mul_lo_u32 v10, s7, v7
	v_add_u32_e32 v9, v9, v10
	v_mul_lo_u32 v11, s6, v7
	v_mul_hi_u32 v12, v8, v11
	v_mul_lo_u32 v13, v8, v11
	v_mul_lo_u32 v15, v7, v9
	v_mul_hi_u32 v11, v7, v11
	v_mul_hi_u32 v14, v7, v9
	v_add_co_u32_e32 v11, vcc, v11, v15
	v_addc_co_u32_e32 v14, vcc, 0, v14, vcc
	v_add_co_u32_e32 v11, vcc, v11, v13
	v_mul_hi_u32 v10, v8, v9
	v_addc_co_u32_e32 v11, vcc, v14, v12, vcc
	v_addc_co_u32_e32 v10, vcc, 0, v10, vcc
	v_mul_lo_u32 v9, v8, v9
	v_add_co_u32_e32 v9, vcc, v11, v9
	v_addc_co_u32_e32 v10, vcc, 0, v10, vcc
	v_add_co_u32_e32 v7, vcc, v7, v9
	v_addc_co_u32_e32 v10, vcc, v8, v10, vcc
	v_ashrrev_i32_e64 v12, 31, 0
	v_add_co_u32_e32 v8, vcc, v0, v12
	v_addc_co_u32_e32 v9, vcc, 0, v12, vcc
	v_xor_b32_e32 v14, v8, v12
	v_xor_b32_e32 v13, v9, v12
	v_mad_u64_u32 v[8:9], s[6:7], v14, v10, 0
	v_mul_hi_u32 v11, v14, v7
	v_add_co_u32_e32 v15, vcc, v11, v8
	v_addc_co_u32_e32 v16, vcc, 0, v9, vcc
	v_mad_u64_u32 v[8:9], s[6:7], v13, v10, 0
	v_mad_u64_u32 v[10:11], s[6:7], v13, v7, 0
	v_add_co_u32_e32 v7, vcc, v15, v10
	v_addc_co_u32_e32 v7, vcc, v16, v11, vcc
	v_addc_co_u32_e32 v9, vcc, 0, v9, vcc
	v_add_co_u32_e32 v7, vcc, v7, v8
	v_addc_co_u32_e32 v10, vcc, 0, v9, vcc
	v_mul_lo_u32 v11, s37, v7
	v_mul_lo_u32 v15, s36, v10
	v_mad_u64_u32 v[8:9], s[6:7], s36, v7, 0
	v_add3_u32 v9, v9, v15, v11
	v_sub_u32_e32 v11, v13, v9
	v_mov_b32_e32 v15, s37
	v_sub_co_u32_e32 v8, vcc, v14, v8
	v_subb_co_u32_e64 v11, s[6:7], v11, v15, vcc
	v_subrev_co_u32_e64 v14, s[6:7], s36, v8
	v_subbrev_co_u32_e64 v11, s[6:7], 0, v11, s[6:7]
	v_cmp_le_u32_e64 s[6:7], s37, v11
	v_cndmask_b32_e64 v15, 0, -1, s[6:7]
	v_cmp_le_u32_e64 s[6:7], s36, v14
	v_cndmask_b32_e64 v14, 0, -1, s[6:7]
	v_cmp_eq_u32_e64 s[6:7], s37, v11
	v_cndmask_b32_e64 v11, v15, v14, s[6:7]
	v_add_co_u32_e64 v14, s[6:7], 2, v7
	v_subb_co_u32_e32 v9, vcc, v13, v9, vcc
	v_addc_co_u32_e64 v15, s[6:7], 0, v10, s[6:7]
	v_cmp_le_u32_e32 vcc, s37, v9
	v_add_co_u32_e64 v16, s[6:7], 1, v7
	v_cndmask_b32_e64 v13, 0, -1, vcc
	v_cmp_le_u32_e32 vcc, s36, v8
	v_addc_co_u32_e64 v17, s[6:7], 0, v10, s[6:7]
	v_cndmask_b32_e64 v8, 0, -1, vcc
	v_cmp_eq_u32_e32 vcc, s37, v9
	v_cmp_ne_u32_e64 s[6:7], 0, v11
	v_cndmask_b32_e32 v8, v13, v8, vcc
	v_cndmask_b32_e64 v11, v17, v15, s[6:7]
	v_cmp_ne_u32_e32 vcc, 0, v8
	v_cndmask_b32_e64 v9, v16, v14, s[6:7]
	v_cndmask_b32_e32 v8, v10, v11, vcc
	v_cndmask_b32_e32 v7, v7, v9, vcc
	v_xor_b32_e32 v10, s10, v12
	v_xor_b32_e32 v9, s11, v12
	;; [unrolled: 1-line block ×4, first 2 shown]
	v_sub_co_u32_e32 v8, vcc, v7, v10
	v_subb_co_u32_e32 v9, vcc, v11, v9, vcc
.LBB3_29:                               ;   in Loop: Header=BB3_27 Depth=2
	s_or_saveexec_b64 s[6:7], s[8:9]
	v_cvt_f32_u32_e32 v7, s33
	s_xor_b64 exec, exec, s[6:7]
	s_cbranch_execz .LBB3_31
; %bb.30:                               ;   in Loop: Header=BB3_27 Depth=2
	v_rcp_iflag_f32_e32 v8, v7
	s_sub_i32 s8, 0, s33
	v_mul_f32_e32 v8, 0x4f7ffffe, v8
	v_cvt_u32_f32_e32 v8, v8
	v_mul_lo_u32 v9, s8, v8
	v_mul_hi_u32 v9, v8, v9
	v_add_u32_e32 v8, v8, v9
	v_mul_hi_u32 v8, v0, v8
	v_mul_lo_u32 v9, v8, s33
	v_sub_u32_e32 v9, v0, v9
	v_add_u32_e32 v10, 1, v8
	v_subrev_u32_e32 v11, s33, v9
	v_cmp_le_u32_e32 vcc, s33, v9
	v_cndmask_b32_e32 v9, v9, v11, vcc
	v_cndmask_b32_e32 v8, v8, v10, vcc
	v_add_u32_e32 v10, 1, v8
	v_cmp_le_u32_e32 vcc, s33, v9
	v_cndmask_b32_e32 v8, v8, v10, vcc
	v_mov_b32_e32 v9, v1
.LBB3_31:                               ;   in Loop: Header=BB3_27 Depth=2
	s_or_b64 exec, exec, s[6:7]
	v_mul_lo_u32 v9, v9, s33
	v_mul_lo_u32 v12, v8, s27
	v_mad_u64_u32 v[10:11], s[6:7], v8, s33, 0
	v_add3_u32 v9, v11, v12, v9
	v_sub_co_u32_e32 v10, vcc, v0, v10
	v_subb_co_u32_e32 v9, vcc, 0, v9, vcc
	v_mul_lo_u32 v9, v9, s18
	v_mul_lo_u32 v11, v10, s52
	v_mad_u64_u32 v[12:13], s[6:7], v10, s18, 0
	v_add3_u32 v13, v13, v11, v9
	v_or_b32_e32 v11, s27, v13
	v_mov_b32_e32 v10, v1
	v_cmp_ne_u64_e32 vcc, 0, v[10:11]
                                        ; implicit-def: $vgpr10_vgpr11
	s_and_saveexec_b64 s[6:7], vcc
	s_xor_b64 s[8:9], exec, s[6:7]
	s_cbranch_execz .LBB3_33
; %bb.32:                               ;   in Loop: Header=BB3_27 Depth=2
	s_add_u32 s6, s33, s27
	s_mov_b32 s10, s27
	s_mov_b32 s11, s27
	s_addc_u32 s7, s27, s27
	s_xor_b64 s[36:37], s[6:7], s[10:11]
	v_cvt_f32_u32_e32 v9, s36
	v_cvt_f32_u32_e32 v10, s37
	s_sub_u32 s6, 0, s36
	s_subb_u32 s7, 0, s37
	v_mac_f32_e32 v9, 0x4f800000, v10
	v_rcp_f32_e32 v9, v9
	v_mul_f32_e32 v9, 0x5f7ffffc, v9
	v_mul_f32_e32 v10, 0x2f800000, v9
	v_trunc_f32_e32 v10, v10
	v_mac_f32_e32 v9, 0xcf800000, v10
	v_cvt_u32_f32_e32 v10, v10
	v_cvt_u32_f32_e32 v9, v9
	v_mul_lo_u32 v11, s6, v10
	v_mul_hi_u32 v15, s6, v9
	v_mul_lo_u32 v14, s7, v9
	v_add_u32_e32 v11, v15, v11
	v_mul_lo_u32 v16, s6, v9
	v_add_u32_e32 v11, v11, v14
	v_mul_lo_u32 v15, v9, v11
	v_mul_hi_u32 v17, v9, v16
	v_mul_hi_u32 v14, v9, v11
	v_add_co_u32_e32 v15, vcc, v17, v15
	v_addc_co_u32_e32 v14, vcc, 0, v14, vcc
	v_mul_hi_u32 v26, v10, v16
	v_mul_lo_u32 v16, v10, v16
	v_add_co_u32_e32 v15, vcc, v15, v16
	v_mul_hi_u32 v17, v10, v11
	v_addc_co_u32_e32 v14, vcc, v14, v26, vcc
	v_addc_co_u32_e32 v15, vcc, 0, v17, vcc
	v_mul_lo_u32 v11, v10, v11
	v_add_co_u32_e32 v11, vcc, v14, v11
	v_addc_co_u32_e32 v14, vcc, 0, v15, vcc
	v_add_co_u32_e32 v9, vcc, v9, v11
	v_addc_co_u32_e32 v10, vcc, v10, v14, vcc
	v_mul_lo_u32 v11, s6, v10
	v_mul_hi_u32 v14, s6, v9
	v_add_u32_e32 v11, v14, v11
	v_mul_lo_u32 v14, s7, v9
	v_add_u32_e32 v11, v11, v14
	v_mul_lo_u32 v15, s6, v9
	v_mul_hi_u32 v16, v10, v15
	v_mul_lo_u32 v17, v10, v15
	v_mul_lo_u32 v27, v9, v11
	v_mul_hi_u32 v15, v9, v15
	v_mul_hi_u32 v26, v9, v11
	v_add_co_u32_e32 v15, vcc, v15, v27
	v_addc_co_u32_e32 v26, vcc, 0, v26, vcc
	v_add_co_u32_e32 v15, vcc, v15, v17
	v_mul_hi_u32 v14, v10, v11
	v_addc_co_u32_e32 v15, vcc, v26, v16, vcc
	v_addc_co_u32_e32 v14, vcc, 0, v14, vcc
	v_mul_lo_u32 v11, v10, v11
	v_add_co_u32_e32 v11, vcc, v15, v11
	v_addc_co_u32_e32 v14, vcc, 0, v14, vcc
	v_add_co_u32_e32 v9, vcc, v9, v11
	v_addc_co_u32_e32 v14, vcc, v10, v14, vcc
	v_ashrrev_i32_e32 v15, 31, v13
	v_add_co_u32_e32 v10, vcc, v12, v15
	v_addc_co_u32_e32 v11, vcc, v13, v15, vcc
	v_xor_b32_e32 v17, v10, v15
	v_xor_b32_e32 v16, v11, v15
	v_mad_u64_u32 v[10:11], s[6:7], v17, v14, 0
	v_mul_hi_u32 v12, v17, v9
	v_add_co_u32_e32 v26, vcc, v12, v10
	v_addc_co_u32_e32 v27, vcc, 0, v11, vcc
	v_mad_u64_u32 v[12:13], s[6:7], v16, v9, 0
	v_add_co_u32_e32 v9, vcc, v26, v12
	v_mad_u64_u32 v[10:11], s[6:7], v16, v14, 0
	v_addc_co_u32_e32 v9, vcc, v27, v13, vcc
	v_addc_co_u32_e32 v11, vcc, 0, v11, vcc
	v_add_co_u32_e32 v9, vcc, v9, v10
	v_addc_co_u32_e32 v12, vcc, 0, v11, vcc
	v_mul_lo_u32 v13, s37, v9
	v_mul_lo_u32 v14, s36, v12
	v_mad_u64_u32 v[10:11], s[6:7], s36, v9, 0
	v_add3_u32 v11, v11, v14, v13
	v_sub_u32_e32 v13, v16, v11
	v_mov_b32_e32 v14, s37
	v_sub_co_u32_e32 v10, vcc, v17, v10
	v_subb_co_u32_e64 v13, s[6:7], v13, v14, vcc
	v_subrev_co_u32_e64 v14, s[6:7], s36, v10
	v_subbrev_co_u32_e64 v13, s[6:7], 0, v13, s[6:7]
	v_cmp_le_u32_e64 s[6:7], s37, v13
	v_cndmask_b32_e64 v17, 0, -1, s[6:7]
	v_cmp_le_u32_e64 s[6:7], s36, v14
	v_cndmask_b32_e64 v14, 0, -1, s[6:7]
	v_cmp_eq_u32_e64 s[6:7], s37, v13
	v_cndmask_b32_e64 v13, v17, v14, s[6:7]
	v_add_co_u32_e64 v14, s[6:7], 2, v9
	v_subb_co_u32_e32 v11, vcc, v16, v11, vcc
	v_addc_co_u32_e64 v17, s[6:7], 0, v12, s[6:7]
	v_cmp_le_u32_e32 vcc, s37, v11
	v_add_co_u32_e64 v26, s[6:7], 1, v9
	v_cndmask_b32_e64 v16, 0, -1, vcc
	v_cmp_le_u32_e32 vcc, s36, v10
	v_addc_co_u32_e64 v27, s[6:7], 0, v12, s[6:7]
	v_cndmask_b32_e64 v10, 0, -1, vcc
	v_cmp_eq_u32_e32 vcc, s37, v11
	v_cmp_ne_u32_e64 s[6:7], 0, v13
	v_cndmask_b32_e32 v10, v16, v10, vcc
	v_cndmask_b32_e64 v13, v27, v17, s[6:7]
	v_cmp_ne_u32_e32 vcc, 0, v10
	v_cndmask_b32_e64 v11, v26, v14, s[6:7]
	v_cndmask_b32_e32 v10, v12, v13, vcc
	v_cndmask_b32_e32 v9, v9, v11, vcc
	v_xor_b32_e32 v12, s10, v15
	v_xor_b32_e32 v11, s11, v15
	;; [unrolled: 1-line block ×4, first 2 shown]
	v_sub_co_u32_e32 v10, vcc, v9, v12
	v_subb_co_u32_e32 v11, vcc, v13, v11, vcc
                                        ; implicit-def: $vgpr12_vgpr13
.LBB3_33:                               ;   in Loop: Header=BB3_27 Depth=2
	s_andn2_saveexec_b64 s[6:7], s[8:9]
	s_cbranch_execz .LBB3_35
; %bb.34:                               ;   in Loop: Header=BB3_27 Depth=2
	v_rcp_iflag_f32_e32 v9, v7
	s_sub_i32 s8, 0, s33
	v_mul_f32_e32 v9, 0x4f7ffffe, v9
	v_cvt_u32_f32_e32 v9, v9
	v_mul_lo_u32 v10, s8, v9
	v_mul_hi_u32 v10, v9, v10
	v_add_u32_e32 v9, v9, v10
	v_mul_hi_u32 v9, v12, v9
	v_mul_lo_u32 v10, v9, s33
	v_sub_u32_e32 v10, v12, v10
	v_add_u32_e32 v11, 1, v9
	v_subrev_u32_e32 v12, s33, v10
	v_cmp_le_u32_e32 vcc, s33, v10
	v_cndmask_b32_e32 v10, v10, v12, vcc
	v_cndmask_b32_e32 v9, v9, v11, vcc
	v_add_u32_e32 v11, 1, v9
	v_cmp_le_u32_e32 vcc, s33, v10
	v_cndmask_b32_e32 v10, v9, v11, vcc
	v_mov_b32_e32 v11, v1
.LBB3_35:                               ;   in Loop: Header=BB3_27 Depth=2
	s_or_b64 exec, exec, s[6:7]
	v_add_co_u32_e32 v9, vcc, 1, v0
	v_addc_co_u32_e64 v12, s[6:7], 0, 0, vcc
	v_mul_lo_u32 v14, v9, s52
	v_mul_lo_u32 v15, v12, s18
	v_mad_u64_u32 v[12:13], s[6:7], v9, s18, -1
	v_add3_u32 v13, v15, v13, v14
	v_or_b32_e32 v15, s27, v13
	v_mov_b32_e32 v14, v1
	v_cmp_ne_u64_e32 vcc, 0, v[14:15]
                                        ; implicit-def: $vgpr14_vgpr15
	s_and_saveexec_b64 s[6:7], vcc
	s_xor_b64 s[8:9], exec, s[6:7]
	s_cbranch_execz .LBB3_37
; %bb.36:                               ;   in Loop: Header=BB3_27 Depth=2
	s_add_u32 s6, s33, s27
	s_mov_b32 s10, s27
	s_mov_b32 s11, s27
	s_addc_u32 s7, s27, s27
	s_xor_b64 s[36:37], s[6:7], s[10:11]
	v_cvt_f32_u32_e32 v7, s36
	v_cvt_f32_u32_e32 v9, s37
	s_sub_u32 s6, 0, s36
	s_subb_u32 s7, 0, s37
	v_mac_f32_e32 v7, 0x4f800000, v9
	v_rcp_f32_e32 v7, v7
	v_mul_f32_e32 v7, 0x5f7ffffc, v7
	v_mul_f32_e32 v9, 0x2f800000, v7
	v_trunc_f32_e32 v9, v9
	v_mac_f32_e32 v7, 0xcf800000, v9
	v_cvt_u32_f32_e32 v9, v9
	v_cvt_u32_f32_e32 v7, v7
	v_mul_lo_u32 v14, s6, v9
	v_mul_hi_u32 v16, s6, v7
	v_mul_lo_u32 v15, s7, v7
	v_add_u32_e32 v14, v16, v14
	v_mul_lo_u32 v17, s6, v7
	v_add_u32_e32 v14, v14, v15
	v_mul_lo_u32 v16, v7, v14
	v_mul_hi_u32 v26, v7, v17
	v_mul_hi_u32 v15, v7, v14
	v_add_co_u32_e32 v16, vcc, v26, v16
	v_addc_co_u32_e32 v15, vcc, 0, v15, vcc
	v_mul_hi_u32 v27, v9, v17
	v_mul_lo_u32 v17, v9, v17
	v_add_co_u32_e32 v16, vcc, v16, v17
	v_mul_hi_u32 v26, v9, v14
	v_addc_co_u32_e32 v15, vcc, v15, v27, vcc
	v_addc_co_u32_e32 v16, vcc, 0, v26, vcc
	v_mul_lo_u32 v14, v9, v14
	v_add_co_u32_e32 v14, vcc, v15, v14
	v_addc_co_u32_e32 v15, vcc, 0, v16, vcc
	v_add_co_u32_e32 v7, vcc, v7, v14
	v_addc_co_u32_e32 v9, vcc, v9, v15, vcc
	v_mul_lo_u32 v14, s6, v9
	v_mul_hi_u32 v15, s6, v7
	v_add_u32_e32 v14, v15, v14
	v_mul_lo_u32 v15, s7, v7
	v_add_u32_e32 v14, v14, v15
	v_mul_lo_u32 v16, s6, v7
	v_mul_hi_u32 v17, v9, v16
	v_mul_lo_u32 v26, v9, v16
	v_mul_lo_u32 v28, v7, v14
	v_mul_hi_u32 v16, v7, v16
	v_mul_hi_u32 v27, v7, v14
	v_add_co_u32_e32 v16, vcc, v16, v28
	v_addc_co_u32_e32 v27, vcc, 0, v27, vcc
	v_add_co_u32_e32 v16, vcc, v16, v26
	v_mul_hi_u32 v15, v9, v14
	v_addc_co_u32_e32 v16, vcc, v27, v17, vcc
	v_addc_co_u32_e32 v15, vcc, 0, v15, vcc
	v_mul_lo_u32 v14, v9, v14
	v_add_co_u32_e32 v14, vcc, v16, v14
	v_addc_co_u32_e32 v15, vcc, 0, v15, vcc
	v_add_co_u32_e32 v7, vcc, v7, v14
	v_addc_co_u32_e32 v9, vcc, v9, v15, vcc
	v_ashrrev_i32_e32 v16, 31, v13
	v_add_co_u32_e32 v12, vcc, v12, v16
	v_addc_co_u32_e32 v13, vcc, v13, v16, vcc
	v_xor_b32_e32 v26, v12, v16
	v_xor_b32_e32 v17, v13, v16
	v_mad_u64_u32 v[12:13], s[6:7], v26, v9, 0
	v_mul_hi_u32 v14, v26, v7
	v_add_co_u32_e32 v27, vcc, v14, v12
	v_addc_co_u32_e32 v28, vcc, 0, v13, vcc
	v_mad_u64_u32 v[14:15], s[6:7], v17, v7, 0
	v_add_co_u32_e32 v7, vcc, v27, v14
	v_mad_u64_u32 v[12:13], s[6:7], v17, v9, 0
	v_addc_co_u32_e32 v7, vcc, v28, v15, vcc
	v_addc_co_u32_e32 v9, vcc, 0, v13, vcc
	v_add_co_u32_e32 v7, vcc, v7, v12
	v_addc_co_u32_e32 v9, vcc, 0, v9, vcc
	v_mul_lo_u32 v14, s37, v7
	v_mul_lo_u32 v9, s36, v9
	v_mad_u64_u32 v[12:13], s[6:7], s36, v7, 0
	v_add3_u32 v9, v13, v9, v14
	v_sub_u32_e32 v13, v17, v9
	v_mov_b32_e32 v14, s37
	v_sub_co_u32_e32 v12, vcc, v26, v12
	v_subb_co_u32_e64 v13, s[6:7], v13, v14, vcc
	v_subrev_co_u32_e64 v14, s[6:7], s36, v12
	v_subbrev_co_u32_e64 v13, s[6:7], 0, v13, s[6:7]
	v_cmp_le_u32_e64 s[6:7], s37, v13
	v_subb_co_u32_e32 v9, vcc, v17, v9, vcc
	v_cndmask_b32_e64 v15, 0, -1, s[6:7]
	v_cmp_le_u32_e64 s[6:7], s36, v14
	v_cmp_le_u32_e32 vcc, s37, v9
	v_cndmask_b32_e64 v14, 0, -1, s[6:7]
	v_cmp_eq_u32_e64 s[6:7], s37, v13
	v_cndmask_b32_e64 v17, 0, -1, vcc
	v_cmp_le_u32_e32 vcc, s36, v12
	v_cndmask_b32_e64 v13, v15, v14, s[6:7]
	v_cndmask_b32_e64 v12, 0, -1, vcc
	v_cmp_eq_u32_e32 vcc, s37, v9
	v_add_co_u32_e64 v14, s[6:7], 2, v7
	v_add_co_u32_e64 v15, s[6:7], 1, v7
	v_cndmask_b32_e32 v9, v17, v12, vcc
	v_cmp_ne_u32_e32 vcc, 0, v13
	v_cndmask_b32_e32 v12, v15, v14, vcc
	v_cmp_ne_u32_e32 vcc, 0, v9
	v_cndmask_b32_e32 v7, v7, v12, vcc
	v_xor_b32_e32 v9, s10, v16
	v_xor_b32_e32 v7, v7, v9
	v_sub_co_u32_e32 v14, vcc, v7, v9
                                        ; implicit-def: $vgpr7
                                        ; implicit-def: $vgpr12_vgpr13
.LBB3_37:                               ;   in Loop: Header=BB3_27 Depth=2
	s_andn2_saveexec_b64 s[6:7], s[8:9]
	s_cbranch_execz .LBB3_39
; %bb.38:                               ;   in Loop: Header=BB3_27 Depth=2
	v_rcp_iflag_f32_e32 v7, v7
	s_sub_i32 s8, 0, s33
	v_mul_f32_e32 v7, 0x4f7ffffe, v7
	v_cvt_u32_f32_e32 v7, v7
	v_mul_lo_u32 v9, s8, v7
	v_mul_hi_u32 v9, v7, v9
	v_add_u32_e32 v7, v7, v9
	v_mul_hi_u32 v7, v12, v7
	v_mul_lo_u32 v9, v7, s33
	v_sub_u32_e32 v9, v12, v9
	v_add_u32_e32 v13, 1, v7
	v_subrev_u32_e32 v12, s33, v9
	v_cmp_le_u32_e32 vcc, s33, v9
	v_cndmask_b32_e32 v9, v9, v12, vcc
	v_cndmask_b32_e32 v7, v7, v13, vcc
	v_add_u32_e32 v12, 1, v7
	v_cmp_le_u32_e32 vcc, s33, v9
	v_cndmask_b32_e32 v14, v7, v12, vcc
.LBB3_39:                               ;   in Loop: Header=BB3_27 Depth=2
	s_or_b64 exec, exec, s[6:7]
	v_mad_u64_u32 v[16:17], s[6:7], v8, s18, v[10:11]
	v_add_u32_e32 v12, v25, v16
	v_ashrrev_i32_e32 v13, 31, v12
	s_andn2_b64 vcc, exec, s[2:3]
	v_mov_b32_e32 v7, 0xffffff80
	s_cbranch_vccnz .LBB3_26
; %bb.40:                               ;   in Loop: Header=BB3_27 Depth=2
	v_sub_u32_e32 v7, v14, v16
	v_add_u32_e32 v26, 1, v7
	v_ashrrev_i32_e32 v7, 31, v16
	v_mad_u64_u32 v[14:15], s[8:9], s14, v16, v[4:5]
	v_mul_lo_u32 v9, s15, v16
	v_mul_lo_u32 v7, s14, v7
	v_add3_u32 v15, v9, v15, v7
	v_add_u32_e32 v7, v6, v8
	s_mov_b32 s55, 0
	v_cmp_lt_i32_e64 s[6:7], 0, v26
	v_mad_u64_u32 v[8:9], s[8:9], s18, v7, v[10:11]
	v_mov_b32_e32 v7, 0xffffff80
	s_branch .LBB3_43
.LBB3_41:                               ;   in Loop: Header=BB3_43 Depth=3
	s_or_b64 exec, exec, s[38:39]
.LBB3_42:                               ;   in Loop: Header=BB3_43 Depth=3
	s_or_b64 exec, exec, s[36:37]
	v_mov_b32_e32 v9, s23
	v_add_co_u32_e32 v14, vcc, s22, v14
	s_add_i32 s55, s55, 1
	v_addc_co_u32_e32 v15, vcc, v15, v9, vcc
	v_cmp_ne_u32_e32 vcc, s55, v19
	v_add_u32_e32 v8, s54, v8
	s_cbranch_vccz .LBB3_26
.LBB3_43:                               ;   Parent Loop BB3_12 Depth=1
                                        ;     Parent Loop BB3_27 Depth=2
                                        ; =>    This Loop Header: Depth=3
                                        ;         Child Loop BB3_46 Depth 4
                                        ;           Child Loop BB3_48 Depth 5
	s_and_saveexec_b64 s[36:37], s[4:5]
	s_cbranch_execz .LBB3_42
; %bb.44:                               ;   in Loop: Header=BB3_43 Depth=3
	s_mov_b32 s56, 0
	s_mov_b64 s[38:39], 0
	v_mov_b32_e32 v9, v8
	v_pk_mov_b32 v[10:11], v[14:15], v[14:15] op_sel:[0,1]
	s_branch .LBB3_46
.LBB3_45:                               ;   in Loop: Header=BB3_46 Depth=4
	s_or_b64 exec, exec, s[40:41]
	v_mov_b32_e32 v16, s13
	v_add_co_u32_e32 v10, vcc, s12, v10
	s_add_i32 s56, s56, 1
	v_addc_co_u32_e32 v11, vcc, v11, v16, vcc
	v_cmp_ge_i32_e32 vcc, s56, v3
	s_or_b64 s[38:39], vcc, s[38:39]
	v_add_u32_e32 v9, s18, v9
	s_andn2_b64 exec, exec, s[38:39]
	s_cbranch_execz .LBB3_41
.LBB3_46:                               ;   Parent Loop BB3_12 Depth=1
                                        ;     Parent Loop BB3_27 Depth=2
                                        ;       Parent Loop BB3_43 Depth=3
                                        ; =>      This Loop Header: Depth=4
                                        ;           Child Loop BB3_48 Depth 5
	s_and_saveexec_b64 s[40:41], s[6:7]
	s_cbranch_execz .LBB3_45
; %bb.47:                               ;   in Loop: Header=BB3_46 Depth=4
	s_mov_b32 s57, 0
	s_mov_b64 s[42:43], 0
	v_pk_mov_b32 v[16:17], v[10:11], v[10:11] op_sel:[0,1]
.LBB3_48:                               ;   Parent Loop BB3_12 Depth=1
                                        ;     Parent Loop BB3_27 Depth=2
                                        ;       Parent Loop BB3_43 Depth=3
                                        ;         Parent Loop BB3_46 Depth=4
                                        ; =>        This Inner Loop Header: Depth=5
	global_load_ushort v27, v[16:17], off
	v_mov_b32_e32 v30, s15
	v_add_co_u32_e32 v16, vcc, s14, v16
	v_lshlrev_b32_e32 v28, 16, v7
	v_addc_co_u32_e32 v17, vcc, v17, v30, vcc
	v_add_u32_e32 v29, s57, v9
	s_add_i32 s57, s57, 1
	v_ashrrev_i32_e32 v31, 31, v29
	v_cmp_ge_i32_e32 vcc, s57, v26
	s_waitcnt vmcnt(0)
	v_lshlrev_b32_e32 v30, 16, v27
	v_cmp_gt_f32_e64 s[8:9], v30, v28
	v_cmp_u_f32_e64 s[10:11], v30, v30
	s_or_b64 s[8:9], s[8:9], s[10:11]
	v_cndmask_b32_e64 v7, v7, v27, s[8:9]
	v_cndmask_b32_e64 v13, v13, v31, s[8:9]
	s_or_b64 s[42:43], vcc, s[42:43]
	v_cndmask_b32_e64 v12, v12, v29, s[8:9]
	s_andn2_b64 exec, exec, s[42:43]
	s_cbranch_execnz .LBB3_48
; %bb.49:                               ;   in Loop: Header=BB3_46 Depth=4
	s_or_b64 exec, exec, s[42:43]
	s_branch .LBB3_45
.LBB3_50:
	s_endpgm
.LBB3_51:
                                        ; implicit-def: $sgpr28_sgpr29
	s_branch .LBB3_2
.LBB3_52:
                                        ; implicit-def: $sgpr26_sgpr27
	s_load_dword s36, s[4:5], 0x64
	s_branch .LBB3_5
.LBB3_53:
                                        ; implicit-def: $vgpr4_vgpr5
	s_load_dword s48, s[4:5], 0x5c
	s_andn2_b64 vcc, exec, s[22:23]
	s_cbranch_vccz .LBB3_9
	s_branch .LBB3_10
	.section	.rodata,"a",@progbits
	.p2align	6, 0x0
	.amdhsa_kernel _ZN2at6native12_GLOBAL__N_115adaptivemaxpoolIN3c108BFloat16EEEvPKT_PS5_Pliiiiiilllll
		.amdhsa_group_segment_fixed_size 0
		.amdhsa_private_segment_fixed_size 0
		.amdhsa_kernarg_size 344
		.amdhsa_user_sgpr_count 6
		.amdhsa_user_sgpr_private_segment_buffer 1
		.amdhsa_user_sgpr_dispatch_ptr 0
		.amdhsa_user_sgpr_queue_ptr 0
		.amdhsa_user_sgpr_kernarg_segment_ptr 1
		.amdhsa_user_sgpr_dispatch_id 0
		.amdhsa_user_sgpr_flat_scratch_init 0
		.amdhsa_user_sgpr_kernarg_preload_length 0
		.amdhsa_user_sgpr_kernarg_preload_offset 0
		.amdhsa_user_sgpr_private_segment_size 0
		.amdhsa_uses_dynamic_stack 0
		.amdhsa_system_sgpr_private_segment_wavefront_offset 0
		.amdhsa_system_sgpr_workgroup_id_x 1
		.amdhsa_system_sgpr_workgroup_id_y 1
		.amdhsa_system_sgpr_workgroup_id_z 0
		.amdhsa_system_sgpr_workgroup_info 0
		.amdhsa_system_vgpr_workitem_id 1
		.amdhsa_next_free_vgpr 32
		.amdhsa_next_free_sgpr 58
		.amdhsa_accum_offset 32
		.amdhsa_reserve_vcc 1
		.amdhsa_reserve_flat_scratch 0
		.amdhsa_float_round_mode_32 0
		.amdhsa_float_round_mode_16_64 0
		.amdhsa_float_denorm_mode_32 3
		.amdhsa_float_denorm_mode_16_64 3
		.amdhsa_dx10_clamp 1
		.amdhsa_ieee_mode 1
		.amdhsa_fp16_overflow 0
		.amdhsa_tg_split 0
		.amdhsa_exception_fp_ieee_invalid_op 0
		.amdhsa_exception_fp_denorm_src 0
		.amdhsa_exception_fp_ieee_div_zero 0
		.amdhsa_exception_fp_ieee_overflow 0
		.amdhsa_exception_fp_ieee_underflow 0
		.amdhsa_exception_fp_ieee_inexact 0
		.amdhsa_exception_int_div_zero 0
	.end_amdhsa_kernel
	.section	.text._ZN2at6native12_GLOBAL__N_115adaptivemaxpoolIN3c108BFloat16EEEvPKT_PS5_Pliiiiiilllll,"axG",@progbits,_ZN2at6native12_GLOBAL__N_115adaptivemaxpoolIN3c108BFloat16EEEvPKT_PS5_Pliiiiiilllll,comdat
.Lfunc_end3:
	.size	_ZN2at6native12_GLOBAL__N_115adaptivemaxpoolIN3c108BFloat16EEEvPKT_PS5_Pliiiiiilllll, .Lfunc_end3-_ZN2at6native12_GLOBAL__N_115adaptivemaxpoolIN3c108BFloat16EEEvPKT_PS5_Pliiiiiilllll
                                        ; -- End function
	.section	.AMDGPU.csdata,"",@progbits
; Kernel info:
; codeLenInByte = 7552
; NumSgprs: 62
; NumVgprs: 32
; NumAgprs: 0
; TotalNumVgprs: 32
; ScratchSize: 0
; MemoryBound: 0
; FloatMode: 240
; IeeeMode: 1
; LDSByteSize: 0 bytes/workgroup (compile time only)
; SGPRBlocks: 7
; VGPRBlocks: 3
; NumSGPRsForWavesPerEU: 62
; NumVGPRsForWavesPerEU: 32
; AccumOffset: 32
; Occupancy: 8
; WaveLimiterHint : 0
; COMPUTE_PGM_RSRC2:SCRATCH_EN: 0
; COMPUTE_PGM_RSRC2:USER_SGPR: 6
; COMPUTE_PGM_RSRC2:TRAP_HANDLER: 0
; COMPUTE_PGM_RSRC2:TGID_X_EN: 1
; COMPUTE_PGM_RSRC2:TGID_Y_EN: 1
; COMPUTE_PGM_RSRC2:TGID_Z_EN: 0
; COMPUTE_PGM_RSRC2:TIDIG_COMP_CNT: 1
; COMPUTE_PGM_RSRC3_GFX90A:ACCUM_OFFSET: 7
; COMPUTE_PGM_RSRC3_GFX90A:TG_SPLIT: 0
	.section	.text._ZN2at6native12_GLOBAL__N_126atomicadaptivemaxgradinputIdEEvPT_PKS3_PKliiiiiil,"axG",@progbits,_ZN2at6native12_GLOBAL__N_126atomicadaptivemaxgradinputIdEEvPT_PKS3_PKliiiiiil,comdat
	.globl	_ZN2at6native12_GLOBAL__N_126atomicadaptivemaxgradinputIdEEvPT_PKS3_PKliiiiiil ; -- Begin function _ZN2at6native12_GLOBAL__N_126atomicadaptivemaxgradinputIdEEvPT_PKS3_PKliiiiiil
	.p2align	8
	.type	_ZN2at6native12_GLOBAL__N_126atomicadaptivemaxgradinputIdEEvPT_PKS3_PKliiiiiil,@function
_ZN2at6native12_GLOBAL__N_126atomicadaptivemaxgradinputIdEEvPT_PKS3_PKliiiiiil: ; @_ZN2at6native12_GLOBAL__N_126atomicadaptivemaxgradinputIdEEvPT_PKS3_PKliiiiiil
; %bb.0:
	s_load_dwordx8 s[8:15], s[4:5], 0x18
	s_mov_b32 s0, 0
	s_waitcnt lgkmcnt(0)
	s_add_u32 s2, s6, s14
	s_addc_u32 s3, 0, s15
	s_ashr_i32 s15, s11, 31
	s_mov_b32 s14, s11
	s_or_b64 s[16:17], s[2:3], s[14:15]
	s_mov_b32 s1, s17
	s_cmp_lg_u64 s[0:1], 0
	s_cbranch_scc0 .LBB4_10
; %bb.1:
	s_add_u32 s0, s14, s15
	s_mov_b32 s16, s15
	s_mov_b32 s17, s15
	s_addc_u32 s1, s15, s15
	s_xor_b64 s[20:21], s[0:1], s[16:17]
	v_cvt_f32_u32_e32 v1, s20
	v_cvt_f32_u32_e32 v2, s21
	s_sub_u32 s0, 0, s20
	s_subb_u32 s1, 0, s21
	v_madmk_f32 v1, v2, 0x4f800000, v1
	v_rcp_f32_e32 v1, v1
	v_mul_f32_e32 v1, 0x5f7ffffc, v1
	v_mul_f32_e32 v2, 0x2f800000, v1
	v_trunc_f32_e32 v2, v2
	v_madmk_f32 v1, v2, 0xcf800000, v1
	v_cvt_u32_f32_e32 v2, v2
	v_cvt_u32_f32_e32 v1, v1
	v_readfirstlane_b32 s6, v2
	v_readfirstlane_b32 s11, v1
	s_mul_i32 s15, s0, s6
	s_mul_hi_u32 s23, s0, s11
	s_mul_i32 s22, s1, s11
	s_add_i32 s15, s23, s15
	s_add_i32 s15, s15, s22
	s_mul_i32 s24, s0, s11
	s_mul_hi_u32 s22, s11, s15
	s_mul_i32 s23, s11, s15
	s_mul_hi_u32 s11, s11, s24
	s_add_u32 s11, s11, s23
	s_addc_u32 s22, 0, s22
	s_mul_hi_u32 s25, s6, s24
	s_mul_i32 s24, s6, s24
	s_add_u32 s11, s11, s24
	s_mul_hi_u32 s23, s6, s15
	s_addc_u32 s11, s22, s25
	s_addc_u32 s22, s23, 0
	s_mul_i32 s15, s6, s15
	s_add_u32 s11, s11, s15
	s_addc_u32 s15, 0, s22
	v_add_co_u32_e32 v1, vcc, s11, v1
	s_cmp_lg_u64 vcc, 0
	s_addc_u32 s6, s6, s15
	v_readfirstlane_b32 s15, v1
	s_mul_i32 s11, s0, s6
	s_mul_hi_u32 s22, s0, s15
	s_add_i32 s11, s22, s11
	s_mul_i32 s1, s1, s15
	s_add_i32 s11, s11, s1
	s_mul_i32 s0, s0, s15
	s_mul_hi_u32 s22, s6, s0
	s_mul_i32 s23, s6, s0
	s_mul_i32 s25, s15, s11
	s_mul_hi_u32 s0, s15, s0
	s_mul_hi_u32 s24, s15, s11
	s_add_u32 s0, s0, s25
	s_addc_u32 s15, 0, s24
	s_add_u32 s0, s0, s23
	s_mul_hi_u32 s1, s6, s11
	s_addc_u32 s0, s15, s22
	s_addc_u32 s1, s1, 0
	s_mul_i32 s11, s6, s11
	s_add_u32 s0, s0, s11
	s_addc_u32 s1, 0, s1
	v_add_co_u32_e32 v1, vcc, s0, v1
	s_cmp_lg_u64 vcc, 0
	s_addc_u32 s6, s6, s1
	s_ashr_i32 s22, s3, 31
	s_add_u32 s0, s2, s22
	s_mov_b32 s23, s22
	s_addc_u32 s1, s3, s22
	s_xor_b64 s[24:25], s[0:1], s[22:23]
	v_readfirstlane_b32 s11, v1
	s_mul_i32 s1, s24, s6
	s_mul_hi_u32 s15, s24, s11
	s_mul_hi_u32 s0, s24, s6
	s_add_u32 s1, s15, s1
	s_addc_u32 s0, 0, s0
	s_mul_hi_u32 s26, s25, s11
	s_mul_i32 s11, s25, s11
	s_add_u32 s1, s1, s11
	s_mul_hi_u32 s15, s25, s6
	s_addc_u32 s0, s0, s26
	s_addc_u32 s1, s15, 0
	s_mul_i32 s6, s25, s6
	s_add_u32 s6, s0, s6
	s_addc_u32 s11, 0, s1
	s_mul_i32 s0, s20, s11
	s_mul_hi_u32 s1, s20, s6
	s_add_i32 s0, s1, s0
	s_mul_i32 s1, s21, s6
	s_add_i32 s15, s0, s1
	s_mul_i32 s1, s20, s6
	v_mov_b32_e32 v1, s1
	s_sub_i32 s0, s25, s15
	v_sub_co_u32_e32 v1, vcc, s24, v1
	s_cmp_lg_u64 vcc, 0
	s_subb_u32 s24, s0, s21
	v_subrev_co_u32_e64 v2, s[0:1], s20, v1
	s_cmp_lg_u64 s[0:1], 0
	s_subb_u32 s0, s24, 0
	s_cmp_ge_u32 s0, s21
	v_readfirstlane_b32 s24, v2
	s_cselect_b32 s1, -1, 0
	s_cmp_ge_u32 s24, s20
	s_cselect_b32 s24, -1, 0
	s_cmp_eq_u32 s0, s21
	s_cselect_b32 s0, s24, s1
	s_add_u32 s1, s6, 1
	s_addc_u32 s24, s11, 0
	s_add_u32 s26, s6, 2
	s_addc_u32 s27, s11, 0
	s_cmp_lg_u32 s0, 0
	s_cselect_b32 s0, s26, s1
	s_cselect_b32 s1, s27, s24
	s_cmp_lg_u64 vcc, 0
	s_subb_u32 s15, s25, s15
	s_cmp_ge_u32 s15, s21
	v_readfirstlane_b32 s25, v1
	s_cselect_b32 s24, -1, 0
	s_cmp_ge_u32 s25, s20
	s_cselect_b32 s20, -1, 0
	s_cmp_eq_u32 s15, s21
	s_cselect_b32 s15, s20, s24
	s_cmp_lg_u32 s15, 0
	s_cselect_b32 s1, s1, s11
	s_cselect_b32 s0, s0, s6
	s_xor_b64 s[16:17], s[22:23], s[16:17]
	s_xor_b64 s[0:1], s[0:1], s[16:17]
	s_sub_u32 s0, s0, s16
	s_load_dword s1, s[4:5], 0x44
	s_cbranch_execnz .LBB4_3
.LBB4_2:
	v_cvt_f32_u32_e32 v1, s14
	s_sub_i32 s0, 0, s14
	v_rcp_iflag_f32_e32 v1, v1
	v_mul_f32_e32 v1, 0x4f7ffffe, v1
	v_cvt_u32_f32_e32 v1, v1
	v_readfirstlane_b32 s6, v1
	s_mul_i32 s0, s0, s6
	s_mul_hi_u32 s0, s6, s0
	s_add_i32 s6, s6, s0
	s_mul_hi_u32 s0, s2, s6
	s_mul_i32 s11, s0, s14
	s_sub_i32 s11, s2, s11
	s_add_i32 s6, s0, 1
	s_sub_i32 s15, s11, s14
	s_cmp_ge_u32 s11, s14
	s_cselect_b32 s0, s6, s0
	s_cselect_b32 s11, s15, s11
	s_add_i32 s6, s0, 1
	s_cmp_ge_u32 s11, s14
	s_cselect_b32 s0, s6, s0
.LBB4_3:
	s_waitcnt lgkmcnt(0)
	s_lshr_b32 s11, s1, 16
	s_mul_i32 s7, s7, s11
	v_bfe_u32 v1, v0, 10, 10
	v_add_u32_e32 v3, s7, v1
	v_cmp_gt_i32_e32 vcc, s12, v3
	s_and_saveexec_b64 s[6:7], vcc
	s_cbranch_execz .LBB4_9
; %bb.4:
	s_load_dword s20, s[4:5], 0x3c
	s_load_dwordx4 s[16:19], s[4:5], 0x0
	s_load_dwordx2 s[6:7], s[4:5], 0x10
	s_mul_i32 s4, s9, s8
	s_mul_i32 s4, s4, s10
	;; [unrolled: 1-line block ×3, first 2 shown]
	s_ashr_i32 s5, s4, 31
	s_lshl_b64 s[4:5], s[4:5], 3
	s_waitcnt lgkmcnt(0)
	s_add_u32 s14, s16, s4
	s_addc_u32 s15, s17, s5
	s_ashr_i32 s4, s13, 31
	s_and_b32 s17, s1, 0xffff
	s_mul_hi_u32 s1, s2, s13
	s_mul_i32 s4, s2, s4
	s_ashr_i32 s0, s12, 31
	s_add_i32 s1, s1, s4
	s_mul_i32 s3, s3, s13
	s_mul_i32 s2, s2, s13
	s_add_i32 s1, s1, s3
	s_mul_i32 s0, s2, s0
	s_mul_hi_u32 s3, s2, s12
	s_add_i32 s0, s3, s0
	s_mul_i32 s1, s1, s12
	v_and_b32_e32 v4, 0x3ff, v0
	s_add_i32 s1, s0, s1
	s_mul_i32 s0, s2, s12
	s_lshl_b64 s[0:1], s[0:1], 3
	v_lshlrev_b32_e32 v0, 3, v4
	s_mul_i32 s16, s20, s11
	v_mov_b32_e32 v1, s1
	v_add_co_u32_e64 v5, s[0:1], s0, v0
	v_cmp_gt_i32_e32 vcc, s13, v4
	s_mov_b32 s20, 0
	v_addc_co_u32_e64 v6, s[0:1], 0, v1, s[0:1]
	v_mul_lo_u32 v0, s13, v3
	s_mul_i32 s21, s16, s13
	s_lshl_b32 s22, s17, 3
	s_mov_b64 s[4:5], 0
	s_branch .LBB4_6
.LBB4_5:                                ;   in Loop: Header=BB4_6 Depth=1
	s_or_b64 exec, exec, s[8:9]
	v_add_u32_e32 v3, s16, v3
	v_cmp_le_i32_e64 s[0:1], s12, v3
	s_or_b64 s[4:5], s[0:1], s[4:5]
	v_add_u32_e32 v0, s21, v0
	s_andn2_b64 exec, exec, s[4:5]
	s_cbranch_execz .LBB4_9
.LBB4_6:                                ; =>This Loop Header: Depth=1
                                        ;     Child Loop BB4_8 Depth 2
	s_and_saveexec_b64 s[8:9], vcc
	s_cbranch_execz .LBB4_5
; %bb.7:                                ;   in Loop: Header=BB4_6 Depth=1
	v_ashrrev_i32_e32 v1, 31, v0
	v_lshlrev_b64 v[8:9], 3, v[0:1]
	v_add_co_u32_e64 v2, s[0:1], v5, v8
	v_addc_co_u32_e64 v1, s[0:1], v6, v9, s[0:1]
	s_mov_b64 s[10:11], 0
	v_mov_b32_e32 v7, v4
.LBB4_8:                                ;   Parent Loop BB4_6 Depth=1
                                        ; =>  This Inner Loop Header: Depth=2
	v_mov_b32_e32 v11, s7
	v_add_co_u32_e64 v10, s[2:3], s6, v2
	v_addc_co_u32_e64 v11, s[2:3], v11, v1, s[2:3]
	global_load_dwordx2 v[10:11], v[10:11], off
	v_mov_b32_e32 v9, s19
	v_add_co_u32_e64 v8, s[0:1], s18, v2
	v_addc_co_u32_e64 v9, s[0:1], v9, v1, s[0:1]
	global_load_dwordx2 v[8:9], v[8:9], off
	v_mov_b32_e32 v12, s15
	v_add_u32_e32 v7, s17, v7
	v_cmp_le_i32_e64 s[2:3], s13, v7
	s_or_b64 s[10:11], s[2:3], s[10:11]
	s_waitcnt vmcnt(1)
	v_lshlrev_b64 v[10:11], 3, v[10:11]
	v_add_co_u32_e64 v10, s[0:1], s14, v10
	v_addc_co_u32_e64 v11, s[0:1], v12, v11, s[0:1]
	v_add_co_u32_e64 v2, s[0:1], s22, v2
	s_waitcnt vmcnt(0)
	global_atomic_add_f64 v[10:11], v[8:9], off
	v_mov_b32_e32 v8, s20
	v_addc_co_u32_e64 v1, s[0:1], v1, v8, s[0:1]
	s_andn2_b64 exec, exec, s[10:11]
	s_cbranch_execnz .LBB4_8
	s_branch .LBB4_5
.LBB4_9:
	s_endpgm
.LBB4_10:
                                        ; implicit-def: $sgpr0_sgpr1
	s_load_dword s1, s[4:5], 0x44
	s_branch .LBB4_2
	.section	.rodata,"a",@progbits
	.p2align	6, 0x0
	.amdhsa_kernel _ZN2at6native12_GLOBAL__N_126atomicadaptivemaxgradinputIdEEvPT_PKS3_PKliiiiiil
		.amdhsa_group_segment_fixed_size 0
		.amdhsa_private_segment_fixed_size 0
		.amdhsa_kernarg_size 312
		.amdhsa_user_sgpr_count 6
		.amdhsa_user_sgpr_private_segment_buffer 1
		.amdhsa_user_sgpr_dispatch_ptr 0
		.amdhsa_user_sgpr_queue_ptr 0
		.amdhsa_user_sgpr_kernarg_segment_ptr 1
		.amdhsa_user_sgpr_dispatch_id 0
		.amdhsa_user_sgpr_flat_scratch_init 0
		.amdhsa_user_sgpr_kernarg_preload_length 0
		.amdhsa_user_sgpr_kernarg_preload_offset 0
		.amdhsa_user_sgpr_private_segment_size 0
		.amdhsa_uses_dynamic_stack 0
		.amdhsa_system_sgpr_private_segment_wavefront_offset 0
		.amdhsa_system_sgpr_workgroup_id_x 1
		.amdhsa_system_sgpr_workgroup_id_y 1
		.amdhsa_system_sgpr_workgroup_id_z 0
		.amdhsa_system_sgpr_workgroup_info 0
		.amdhsa_system_vgpr_workitem_id 1
		.amdhsa_next_free_vgpr 13
		.amdhsa_next_free_sgpr 28
		.amdhsa_accum_offset 16
		.amdhsa_reserve_vcc 1
		.amdhsa_reserve_flat_scratch 0
		.amdhsa_float_round_mode_32 0
		.amdhsa_float_round_mode_16_64 0
		.amdhsa_float_denorm_mode_32 3
		.amdhsa_float_denorm_mode_16_64 3
		.amdhsa_dx10_clamp 1
		.amdhsa_ieee_mode 1
		.amdhsa_fp16_overflow 0
		.amdhsa_tg_split 0
		.amdhsa_exception_fp_ieee_invalid_op 0
		.amdhsa_exception_fp_denorm_src 0
		.amdhsa_exception_fp_ieee_div_zero 0
		.amdhsa_exception_fp_ieee_overflow 0
		.amdhsa_exception_fp_ieee_underflow 0
		.amdhsa_exception_fp_ieee_inexact 0
		.amdhsa_exception_int_div_zero 0
	.end_amdhsa_kernel
	.section	.text._ZN2at6native12_GLOBAL__N_126atomicadaptivemaxgradinputIdEEvPT_PKS3_PKliiiiiil,"axG",@progbits,_ZN2at6native12_GLOBAL__N_126atomicadaptivemaxgradinputIdEEvPT_PKS3_PKliiiiiil,comdat
.Lfunc_end4:
	.size	_ZN2at6native12_GLOBAL__N_126atomicadaptivemaxgradinputIdEEvPT_PKS3_PKliiiiiil, .Lfunc_end4-_ZN2at6native12_GLOBAL__N_126atomicadaptivemaxgradinputIdEEvPT_PKS3_PKliiiiiil
                                        ; -- End function
	.section	.AMDGPU.csdata,"",@progbits
; Kernel info:
; codeLenInByte = 1156
; NumSgprs: 32
; NumVgprs: 13
; NumAgprs: 0
; TotalNumVgprs: 13
; ScratchSize: 0
; MemoryBound: 0
; FloatMode: 240
; IeeeMode: 1
; LDSByteSize: 0 bytes/workgroup (compile time only)
; SGPRBlocks: 3
; VGPRBlocks: 1
; NumSGPRsForWavesPerEU: 32
; NumVGPRsForWavesPerEU: 13
; AccumOffset: 16
; Occupancy: 8
; WaveLimiterHint : 0
; COMPUTE_PGM_RSRC2:SCRATCH_EN: 0
; COMPUTE_PGM_RSRC2:USER_SGPR: 6
; COMPUTE_PGM_RSRC2:TRAP_HANDLER: 0
; COMPUTE_PGM_RSRC2:TGID_X_EN: 1
; COMPUTE_PGM_RSRC2:TGID_Y_EN: 1
; COMPUTE_PGM_RSRC2:TGID_Z_EN: 0
; COMPUTE_PGM_RSRC2:TIDIG_COMP_CNT: 1
; COMPUTE_PGM_RSRC3_GFX90A:ACCUM_OFFSET: 3
; COMPUTE_PGM_RSRC3_GFX90A:TG_SPLIT: 0
	.section	.text._ZN2at6native12_GLOBAL__N_126atomicadaptivemaxgradinputIfEEvPT_PKS3_PKliiiiiil,"axG",@progbits,_ZN2at6native12_GLOBAL__N_126atomicadaptivemaxgradinputIfEEvPT_PKS3_PKliiiiiil,comdat
	.globl	_ZN2at6native12_GLOBAL__N_126atomicadaptivemaxgradinputIfEEvPT_PKS3_PKliiiiiil ; -- Begin function _ZN2at6native12_GLOBAL__N_126atomicadaptivemaxgradinputIfEEvPT_PKS3_PKliiiiiil
	.p2align	8
	.type	_ZN2at6native12_GLOBAL__N_126atomicadaptivemaxgradinputIfEEvPT_PKS3_PKliiiiiil,@function
_ZN2at6native12_GLOBAL__N_126atomicadaptivemaxgradinputIfEEvPT_PKS3_PKliiiiiil: ; @_ZN2at6native12_GLOBAL__N_126atomicadaptivemaxgradinputIfEEvPT_PKS3_PKliiiiiil
; %bb.0:
	s_load_dwordx8 s[8:15], s[4:5], 0x18
	s_mov_b32 s0, 0
	s_waitcnt lgkmcnt(0)
	s_add_u32 s2, s6, s14
	s_addc_u32 s3, 0, s15
	s_ashr_i32 s15, s11, 31
	s_mov_b32 s14, s11
	s_or_b64 s[16:17], s[2:3], s[14:15]
	s_mov_b32 s1, s17
	s_cmp_lg_u64 s[0:1], 0
	s_cbranch_scc0 .LBB5_10
; %bb.1:
	s_add_u32 s0, s14, s15
	s_mov_b32 s16, s15
	s_mov_b32 s17, s15
	s_addc_u32 s1, s15, s15
	s_xor_b64 s[20:21], s[0:1], s[16:17]
	v_cvt_f32_u32_e32 v1, s20
	v_cvt_f32_u32_e32 v2, s21
	s_sub_u32 s0, 0, s20
	s_subb_u32 s1, 0, s21
	v_madmk_f32 v1, v2, 0x4f800000, v1
	v_rcp_f32_e32 v1, v1
	v_mul_f32_e32 v1, 0x5f7ffffc, v1
	v_mul_f32_e32 v2, 0x2f800000, v1
	v_trunc_f32_e32 v2, v2
	v_madmk_f32 v1, v2, 0xcf800000, v1
	v_cvt_u32_f32_e32 v2, v2
	v_cvt_u32_f32_e32 v1, v1
	v_readfirstlane_b32 s6, v2
	v_readfirstlane_b32 s11, v1
	s_mul_i32 s15, s0, s6
	s_mul_hi_u32 s23, s0, s11
	s_mul_i32 s22, s1, s11
	s_add_i32 s15, s23, s15
	s_add_i32 s15, s15, s22
	s_mul_i32 s24, s0, s11
	s_mul_hi_u32 s22, s11, s15
	s_mul_i32 s23, s11, s15
	s_mul_hi_u32 s11, s11, s24
	s_add_u32 s11, s11, s23
	s_addc_u32 s22, 0, s22
	s_mul_hi_u32 s25, s6, s24
	s_mul_i32 s24, s6, s24
	s_add_u32 s11, s11, s24
	s_mul_hi_u32 s23, s6, s15
	s_addc_u32 s11, s22, s25
	s_addc_u32 s22, s23, 0
	s_mul_i32 s15, s6, s15
	s_add_u32 s11, s11, s15
	s_addc_u32 s15, 0, s22
	v_add_co_u32_e32 v1, vcc, s11, v1
	s_cmp_lg_u64 vcc, 0
	s_addc_u32 s6, s6, s15
	v_readfirstlane_b32 s15, v1
	s_mul_i32 s11, s0, s6
	s_mul_hi_u32 s22, s0, s15
	s_add_i32 s11, s22, s11
	s_mul_i32 s1, s1, s15
	s_add_i32 s11, s11, s1
	s_mul_i32 s0, s0, s15
	s_mul_hi_u32 s22, s6, s0
	s_mul_i32 s23, s6, s0
	s_mul_i32 s25, s15, s11
	s_mul_hi_u32 s0, s15, s0
	s_mul_hi_u32 s24, s15, s11
	s_add_u32 s0, s0, s25
	s_addc_u32 s15, 0, s24
	s_add_u32 s0, s0, s23
	s_mul_hi_u32 s1, s6, s11
	s_addc_u32 s0, s15, s22
	s_addc_u32 s1, s1, 0
	s_mul_i32 s11, s6, s11
	s_add_u32 s0, s0, s11
	s_addc_u32 s1, 0, s1
	v_add_co_u32_e32 v1, vcc, s0, v1
	s_cmp_lg_u64 vcc, 0
	s_addc_u32 s6, s6, s1
	s_ashr_i32 s22, s3, 31
	s_add_u32 s0, s2, s22
	s_mov_b32 s23, s22
	s_addc_u32 s1, s3, s22
	s_xor_b64 s[24:25], s[0:1], s[22:23]
	v_readfirstlane_b32 s11, v1
	s_mul_i32 s1, s24, s6
	s_mul_hi_u32 s15, s24, s11
	s_mul_hi_u32 s0, s24, s6
	s_add_u32 s1, s15, s1
	s_addc_u32 s0, 0, s0
	s_mul_hi_u32 s26, s25, s11
	s_mul_i32 s11, s25, s11
	s_add_u32 s1, s1, s11
	s_mul_hi_u32 s15, s25, s6
	s_addc_u32 s0, s0, s26
	s_addc_u32 s1, s15, 0
	s_mul_i32 s6, s25, s6
	s_add_u32 s6, s0, s6
	s_addc_u32 s11, 0, s1
	s_mul_i32 s0, s20, s11
	s_mul_hi_u32 s1, s20, s6
	s_add_i32 s0, s1, s0
	s_mul_i32 s1, s21, s6
	s_add_i32 s15, s0, s1
	s_mul_i32 s1, s20, s6
	v_mov_b32_e32 v1, s1
	s_sub_i32 s0, s25, s15
	v_sub_co_u32_e32 v1, vcc, s24, v1
	s_cmp_lg_u64 vcc, 0
	s_subb_u32 s24, s0, s21
	v_subrev_co_u32_e64 v2, s[0:1], s20, v1
	s_cmp_lg_u64 s[0:1], 0
	s_subb_u32 s0, s24, 0
	s_cmp_ge_u32 s0, s21
	v_readfirstlane_b32 s24, v2
	s_cselect_b32 s1, -1, 0
	s_cmp_ge_u32 s24, s20
	s_cselect_b32 s24, -1, 0
	s_cmp_eq_u32 s0, s21
	s_cselect_b32 s0, s24, s1
	s_add_u32 s1, s6, 1
	s_addc_u32 s24, s11, 0
	s_add_u32 s26, s6, 2
	s_addc_u32 s27, s11, 0
	s_cmp_lg_u32 s0, 0
	s_cselect_b32 s0, s26, s1
	s_cselect_b32 s1, s27, s24
	s_cmp_lg_u64 vcc, 0
	s_subb_u32 s15, s25, s15
	s_cmp_ge_u32 s15, s21
	v_readfirstlane_b32 s25, v1
	s_cselect_b32 s24, -1, 0
	s_cmp_ge_u32 s25, s20
	s_cselect_b32 s20, -1, 0
	s_cmp_eq_u32 s15, s21
	s_cselect_b32 s15, s20, s24
	s_cmp_lg_u32 s15, 0
	s_cselect_b32 s1, s1, s11
	s_cselect_b32 s0, s0, s6
	s_xor_b64 s[16:17], s[22:23], s[16:17]
	s_xor_b64 s[0:1], s[0:1], s[16:17]
	s_sub_u32 s0, s0, s16
	s_load_dword s1, s[4:5], 0x44
	s_cbranch_execnz .LBB5_3
.LBB5_2:
	v_cvt_f32_u32_e32 v1, s14
	s_sub_i32 s0, 0, s14
	v_rcp_iflag_f32_e32 v1, v1
	v_mul_f32_e32 v1, 0x4f7ffffe, v1
	v_cvt_u32_f32_e32 v1, v1
	v_readfirstlane_b32 s6, v1
	s_mul_i32 s0, s0, s6
	s_mul_hi_u32 s0, s6, s0
	s_add_i32 s6, s6, s0
	s_mul_hi_u32 s0, s2, s6
	s_mul_i32 s11, s0, s14
	s_sub_i32 s11, s2, s11
	s_add_i32 s6, s0, 1
	s_sub_i32 s15, s11, s14
	s_cmp_ge_u32 s11, s14
	s_cselect_b32 s0, s6, s0
	s_cselect_b32 s11, s15, s11
	s_add_i32 s6, s0, 1
	s_cmp_ge_u32 s11, s14
	s_cselect_b32 s0, s6, s0
.LBB5_3:
	s_waitcnt lgkmcnt(0)
	s_lshr_b32 s6, s1, 16
	s_mul_i32 s7, s7, s6
	v_bfe_u32 v1, v0, 10, 10
	v_add_u32_e32 v6, s7, v1
	v_cmp_gt_i32_e32 vcc, s12, v6
	s_and_saveexec_b64 s[14:15], vcc
	s_cbranch_execz .LBB5_9
; %bb.4:
	s_load_dword s14, s[4:5], 0x3c
	s_load_dwordx4 s[16:19], s[4:5], 0x0
	s_load_dwordx2 s[20:21], s[4:5], 0x10
	s_mul_i32 s4, s9, s8
	s_mul_i32 s4, s4, s10
	;; [unrolled: 1-line block ×3, first 2 shown]
	s_ashr_i32 s5, s4, 31
	s_lshl_b64 s[4:5], s[4:5], 2
	s_waitcnt lgkmcnt(0)
	s_add_u32 s10, s16, s4
	s_addc_u32 s11, s17, s5
	s_ashr_i32 s4, s13, 31
	s_and_b32 s15, s1, 0xffff
	s_mul_hi_u32 s1, s2, s13
	s_mul_i32 s4, s2, s4
	s_ashr_i32 s0, s12, 31
	s_add_i32 s1, s1, s4
	s_mul_i32 s3, s3, s13
	s_mul_i32 s2, s2, s13
	s_add_i32 s1, s1, s3
	s_mul_i32 s0, s2, s0
	s_mul_hi_u32 s3, s2, s12
	s_add_i32 s0, s3, s0
	s_mul_i32 s1, s1, s12
	s_add_i32 s3, s0, s1
	s_mul_i32 s2, s2, s12
	s_lshl_b64 s[0:1], s[2:3], 2
	v_and_b32_e32 v7, 0x3ff, v0
	s_add_u32 s0, s18, s0
	v_lshlrev_b32_e32 v0, 2, v7
	s_addc_u32 s1, s19, s1
	v_mov_b32_e32 v1, s1
	v_add_co_u32_e64 v8, s[0:1], s0, v0
	v_addc_co_u32_e64 v9, s[0:1], 0, v1, s[0:1]
	s_lshl_b32 s18, s15, 2
	s_lshl_b64 s[0:1], s[2:3], 3
	s_add_u32 s0, s20, s0
	v_lshlrev_b32_e32 v1, 3, v7
	s_addc_u32 s1, s21, s1
	s_mul_i32 s14, s14, s6
	s_mov_b32 s16, 0
	v_mov_b32_e32 v2, s1
	v_add_co_u32_e64 v10, s[0:1], s0, v1
	v_cmp_gt_i32_e32 vcc, s13, v7
	v_mul_lo_u32 v0, s13, v6
	s_mul_i32 s17, s14, s13
	v_addc_co_u32_e64 v11, s[0:1], 0, v2, s[0:1]
	s_lshl_b32 s19, s15, 3
	s_mov_b32 s20, s16
	s_mov_b64 s[4:5], 0
	s_branch .LBB5_6
.LBB5_5:                                ;   in Loop: Header=BB5_6 Depth=1
	s_or_b64 exec, exec, s[6:7]
	v_add_u32_e32 v6, s14, v6
	v_cmp_le_i32_e64 s[0:1], s12, v6
	s_or_b64 s[4:5], s[0:1], s[4:5]
	v_add_u32_e32 v0, s17, v0
	s_andn2_b64 exec, exec, s[4:5]
	s_cbranch_execz .LBB5_9
.LBB5_6:                                ; =>This Loop Header: Depth=1
                                        ;     Child Loop BB5_8 Depth 2
	s_and_saveexec_b64 s[6:7], vcc
	s_cbranch_execz .LBB5_5
; %bb.7:                                ;   in Loop: Header=BB5_6 Depth=1
	v_ashrrev_i32_e32 v1, 31, v0
	v_lshlrev_b64 v[2:3], 2, v[0:1]
	v_add_co_u32_e64 v2, s[0:1], v8, v2
	v_addc_co_u32_e64 v3, s[0:1], v9, v3, s[0:1]
	v_lshlrev_b64 v[4:5], 3, v[0:1]
	v_add_co_u32_e64 v4, s[0:1], v10, v4
	v_addc_co_u32_e64 v5, s[0:1], v11, v5, s[0:1]
	s_mov_b64 s[8:9], 0
	v_mov_b32_e32 v1, v7
.LBB5_8:                                ;   Parent Loop BB5_6 Depth=1
                                        ; =>  This Inner Loop Header: Depth=2
	global_load_dwordx2 v[12:13], v[4:5], off
	global_load_dword v14, v[2:3], off
	v_mov_b32_e32 v15, s11
	v_add_co_u32_e64 v2, s[2:3], s18, v2
	v_add_u32_e32 v1, s15, v1
	s_waitcnt vmcnt(1)
	v_lshlrev_b64 v[12:13], 2, v[12:13]
	v_add_co_u32_e64 v12, s[0:1], s10, v12
	v_addc_co_u32_e64 v13, s[0:1], v15, v13, s[0:1]
	s_waitcnt vmcnt(0)
	global_atomic_add_f32 v[12:13], v14, off
	v_mov_b32_e32 v12, s16
	v_addc_co_u32_e64 v3, s[2:3], v3, v12, s[2:3]
	v_mov_b32_e32 v13, s20
	v_add_co_u32_e64 v4, s[0:1], s19, v4
	v_cmp_le_i32_e64 s[2:3], s13, v1
	s_or_b64 s[8:9], s[2:3], s[8:9]
	v_addc_co_u32_e64 v5, s[0:1], v5, v13, s[0:1]
	s_andn2_b64 exec, exec, s[8:9]
	s_cbranch_execnz .LBB5_8
	s_branch .LBB5_5
.LBB5_9:
	s_endpgm
.LBB5_10:
                                        ; implicit-def: $sgpr0_sgpr1
	s_load_dword s1, s[4:5], 0x44
	s_branch .LBB5_2
	.section	.rodata,"a",@progbits
	.p2align	6, 0x0
	.amdhsa_kernel _ZN2at6native12_GLOBAL__N_126atomicadaptivemaxgradinputIfEEvPT_PKS3_PKliiiiiil
		.amdhsa_group_segment_fixed_size 0
		.amdhsa_private_segment_fixed_size 0
		.amdhsa_kernarg_size 312
		.amdhsa_user_sgpr_count 6
		.amdhsa_user_sgpr_private_segment_buffer 1
		.amdhsa_user_sgpr_dispatch_ptr 0
		.amdhsa_user_sgpr_queue_ptr 0
		.amdhsa_user_sgpr_kernarg_segment_ptr 1
		.amdhsa_user_sgpr_dispatch_id 0
		.amdhsa_user_sgpr_flat_scratch_init 0
		.amdhsa_user_sgpr_kernarg_preload_length 0
		.amdhsa_user_sgpr_kernarg_preload_offset 0
		.amdhsa_user_sgpr_private_segment_size 0
		.amdhsa_uses_dynamic_stack 0
		.amdhsa_system_sgpr_private_segment_wavefront_offset 0
		.amdhsa_system_sgpr_workgroup_id_x 1
		.amdhsa_system_sgpr_workgroup_id_y 1
		.amdhsa_system_sgpr_workgroup_id_z 0
		.amdhsa_system_sgpr_workgroup_info 0
		.amdhsa_system_vgpr_workitem_id 1
		.amdhsa_next_free_vgpr 16
		.amdhsa_next_free_sgpr 28
		.amdhsa_accum_offset 16
		.amdhsa_reserve_vcc 1
		.amdhsa_reserve_flat_scratch 0
		.amdhsa_float_round_mode_32 0
		.amdhsa_float_round_mode_16_64 0
		.amdhsa_float_denorm_mode_32 3
		.amdhsa_float_denorm_mode_16_64 3
		.amdhsa_dx10_clamp 1
		.amdhsa_ieee_mode 1
		.amdhsa_fp16_overflow 0
		.amdhsa_tg_split 0
		.amdhsa_exception_fp_ieee_invalid_op 0
		.amdhsa_exception_fp_denorm_src 0
		.amdhsa_exception_fp_ieee_div_zero 0
		.amdhsa_exception_fp_ieee_overflow 0
		.amdhsa_exception_fp_ieee_underflow 0
		.amdhsa_exception_fp_ieee_inexact 0
		.amdhsa_exception_int_div_zero 0
	.end_amdhsa_kernel
	.section	.text._ZN2at6native12_GLOBAL__N_126atomicadaptivemaxgradinputIfEEvPT_PKS3_PKliiiiiil,"axG",@progbits,_ZN2at6native12_GLOBAL__N_126atomicadaptivemaxgradinputIfEEvPT_PKS3_PKliiiiiil,comdat
.Lfunc_end5:
	.size	_ZN2at6native12_GLOBAL__N_126atomicadaptivemaxgradinputIfEEvPT_PKS3_PKliiiiiil, .Lfunc_end5-_ZN2at6native12_GLOBAL__N_126atomicadaptivemaxgradinputIfEEvPT_PKS3_PKliiiiiil
                                        ; -- End function
	.section	.AMDGPU.csdata,"",@progbits
; Kernel info:
; codeLenInByte = 1212
; NumSgprs: 32
; NumVgprs: 16
; NumAgprs: 0
; TotalNumVgprs: 16
; ScratchSize: 0
; MemoryBound: 0
; FloatMode: 240
; IeeeMode: 1
; LDSByteSize: 0 bytes/workgroup (compile time only)
; SGPRBlocks: 3
; VGPRBlocks: 1
; NumSGPRsForWavesPerEU: 32
; NumVGPRsForWavesPerEU: 16
; AccumOffset: 16
; Occupancy: 8
; WaveLimiterHint : 0
; COMPUTE_PGM_RSRC2:SCRATCH_EN: 0
; COMPUTE_PGM_RSRC2:USER_SGPR: 6
; COMPUTE_PGM_RSRC2:TRAP_HANDLER: 0
; COMPUTE_PGM_RSRC2:TGID_X_EN: 1
; COMPUTE_PGM_RSRC2:TGID_Y_EN: 1
; COMPUTE_PGM_RSRC2:TGID_Z_EN: 0
; COMPUTE_PGM_RSRC2:TIDIG_COMP_CNT: 1
; COMPUTE_PGM_RSRC3_GFX90A:ACCUM_OFFSET: 3
; COMPUTE_PGM_RSRC3_GFX90A:TG_SPLIT: 0
	.section	.text._ZN2at6native12_GLOBAL__N_126atomicadaptivemaxgradinputIN3c104HalfEEEvPT_PKS5_PKliiiiiil,"axG",@progbits,_ZN2at6native12_GLOBAL__N_126atomicadaptivemaxgradinputIN3c104HalfEEEvPT_PKS5_PKliiiiiil,comdat
	.globl	_ZN2at6native12_GLOBAL__N_126atomicadaptivemaxgradinputIN3c104HalfEEEvPT_PKS5_PKliiiiiil ; -- Begin function _ZN2at6native12_GLOBAL__N_126atomicadaptivemaxgradinputIN3c104HalfEEEvPT_PKS5_PKliiiiiil
	.p2align	8
	.type	_ZN2at6native12_GLOBAL__N_126atomicadaptivemaxgradinputIN3c104HalfEEEvPT_PKS5_PKliiiiiil,@function
_ZN2at6native12_GLOBAL__N_126atomicadaptivemaxgradinputIN3c104HalfEEEvPT_PKS5_PKliiiiiil: ; @_ZN2at6native12_GLOBAL__N_126atomicadaptivemaxgradinputIN3c104HalfEEEvPT_PKS5_PKliiiiiil
; %bb.0:
	s_load_dwordx8 s[8:15], s[4:5], 0x18
	s_mov_b32 s0, 0
	s_waitcnt lgkmcnt(0)
	s_add_u32 s2, s6, s14
	s_addc_u32 s3, 0, s15
	s_ashr_i32 s15, s11, 31
	s_mov_b32 s14, s11
	s_or_b64 s[16:17], s[2:3], s[14:15]
	s_mov_b32 s1, s17
	s_cmp_lg_u64 s[0:1], 0
	s_cbranch_scc0 .LBB6_16
; %bb.1:
	s_add_u32 s0, s14, s15
	s_mov_b32 s16, s15
	s_mov_b32 s17, s15
	s_addc_u32 s1, s15, s15
	s_xor_b64 s[20:21], s[0:1], s[16:17]
	v_cvt_f32_u32_e32 v1, s20
	v_cvt_f32_u32_e32 v2, s21
	s_sub_u32 s0, 0, s20
	s_subb_u32 s1, 0, s21
	v_madmk_f32 v1, v2, 0x4f800000, v1
	v_rcp_f32_e32 v1, v1
	v_mul_f32_e32 v1, 0x5f7ffffc, v1
	v_mul_f32_e32 v2, 0x2f800000, v1
	v_trunc_f32_e32 v2, v2
	v_madmk_f32 v1, v2, 0xcf800000, v1
	v_cvt_u32_f32_e32 v2, v2
	v_cvt_u32_f32_e32 v1, v1
	v_readfirstlane_b32 s6, v2
	v_readfirstlane_b32 s11, v1
	s_mul_i32 s15, s0, s6
	s_mul_hi_u32 s23, s0, s11
	s_mul_i32 s22, s1, s11
	s_add_i32 s15, s23, s15
	s_add_i32 s15, s15, s22
	s_mul_i32 s24, s0, s11
	s_mul_hi_u32 s22, s11, s15
	s_mul_i32 s23, s11, s15
	s_mul_hi_u32 s11, s11, s24
	s_add_u32 s11, s11, s23
	s_addc_u32 s22, 0, s22
	s_mul_hi_u32 s25, s6, s24
	s_mul_i32 s24, s6, s24
	s_add_u32 s11, s11, s24
	s_mul_hi_u32 s23, s6, s15
	s_addc_u32 s11, s22, s25
	s_addc_u32 s22, s23, 0
	s_mul_i32 s15, s6, s15
	s_add_u32 s11, s11, s15
	s_addc_u32 s15, 0, s22
	v_add_co_u32_e32 v1, vcc, s11, v1
	s_cmp_lg_u64 vcc, 0
	s_addc_u32 s6, s6, s15
	v_readfirstlane_b32 s15, v1
	s_mul_i32 s11, s0, s6
	s_mul_hi_u32 s22, s0, s15
	s_add_i32 s11, s22, s11
	s_mul_i32 s1, s1, s15
	s_add_i32 s11, s11, s1
	s_mul_i32 s0, s0, s15
	s_mul_hi_u32 s22, s6, s0
	s_mul_i32 s23, s6, s0
	s_mul_i32 s25, s15, s11
	s_mul_hi_u32 s0, s15, s0
	s_mul_hi_u32 s24, s15, s11
	s_add_u32 s0, s0, s25
	s_addc_u32 s15, 0, s24
	s_add_u32 s0, s0, s23
	s_mul_hi_u32 s1, s6, s11
	s_addc_u32 s0, s15, s22
	s_addc_u32 s1, s1, 0
	s_mul_i32 s11, s6, s11
	s_add_u32 s0, s0, s11
	s_addc_u32 s1, 0, s1
	v_add_co_u32_e32 v1, vcc, s0, v1
	s_cmp_lg_u64 vcc, 0
	s_addc_u32 s6, s6, s1
	s_ashr_i32 s22, s3, 31
	s_add_u32 s0, s2, s22
	s_mov_b32 s23, s22
	s_addc_u32 s1, s3, s22
	s_xor_b64 s[24:25], s[0:1], s[22:23]
	v_readfirstlane_b32 s11, v1
	s_mul_i32 s1, s24, s6
	s_mul_hi_u32 s15, s24, s11
	s_mul_hi_u32 s0, s24, s6
	s_add_u32 s1, s15, s1
	s_addc_u32 s0, 0, s0
	s_mul_hi_u32 s26, s25, s11
	s_mul_i32 s11, s25, s11
	s_add_u32 s1, s1, s11
	s_mul_hi_u32 s15, s25, s6
	s_addc_u32 s0, s0, s26
	s_addc_u32 s1, s15, 0
	s_mul_i32 s6, s25, s6
	s_add_u32 s6, s0, s6
	s_addc_u32 s11, 0, s1
	s_mul_i32 s0, s20, s11
	s_mul_hi_u32 s1, s20, s6
	s_add_i32 s0, s1, s0
	s_mul_i32 s1, s21, s6
	s_add_i32 s15, s0, s1
	s_mul_i32 s1, s20, s6
	v_mov_b32_e32 v1, s1
	s_sub_i32 s0, s25, s15
	v_sub_co_u32_e32 v1, vcc, s24, v1
	s_cmp_lg_u64 vcc, 0
	s_subb_u32 s24, s0, s21
	v_subrev_co_u32_e64 v2, s[0:1], s20, v1
	s_cmp_lg_u64 s[0:1], 0
	s_subb_u32 s0, s24, 0
	s_cmp_ge_u32 s0, s21
	v_readfirstlane_b32 s24, v2
	s_cselect_b32 s1, -1, 0
	s_cmp_ge_u32 s24, s20
	s_cselect_b32 s24, -1, 0
	s_cmp_eq_u32 s0, s21
	s_cselect_b32 s0, s24, s1
	s_add_u32 s1, s6, 1
	s_addc_u32 s24, s11, 0
	s_add_u32 s26, s6, 2
	s_addc_u32 s27, s11, 0
	s_cmp_lg_u32 s0, 0
	s_cselect_b32 s0, s26, s1
	s_cselect_b32 s1, s27, s24
	s_cmp_lg_u64 vcc, 0
	s_subb_u32 s15, s25, s15
	s_cmp_ge_u32 s15, s21
	v_readfirstlane_b32 s25, v1
	s_cselect_b32 s24, -1, 0
	s_cmp_ge_u32 s25, s20
	s_cselect_b32 s20, -1, 0
	s_cmp_eq_u32 s15, s21
	s_cselect_b32 s15, s20, s24
	s_cmp_lg_u32 s15, 0
	s_cselect_b32 s1, s1, s11
	s_cselect_b32 s0, s0, s6
	s_xor_b64 s[16:17], s[22:23], s[16:17]
	s_xor_b64 s[0:1], s[0:1], s[16:17]
	s_sub_u32 s0, s0, s16
	s_load_dword s1, s[4:5], 0x44
	s_cbranch_execnz .LBB6_3
.LBB6_2:
	v_cvt_f32_u32_e32 v1, s14
	s_sub_i32 s0, 0, s14
	v_rcp_iflag_f32_e32 v1, v1
	v_mul_f32_e32 v1, 0x4f7ffffe, v1
	v_cvt_u32_f32_e32 v1, v1
	v_readfirstlane_b32 s6, v1
	s_mul_i32 s0, s0, s6
	s_mul_hi_u32 s0, s6, s0
	s_add_i32 s6, s6, s0
	s_mul_hi_u32 s0, s2, s6
	s_mul_i32 s11, s0, s14
	s_sub_i32 s11, s2, s11
	s_add_i32 s6, s0, 1
	s_sub_i32 s15, s11, s14
	s_cmp_ge_u32 s11, s14
	s_cselect_b32 s0, s6, s0
	s_cselect_b32 s11, s15, s11
	s_add_i32 s6, s0, 1
	s_cmp_ge_u32 s11, s14
	s_cselect_b32 s0, s6, s0
.LBB6_3:
	s_waitcnt lgkmcnt(0)
	s_lshr_b32 s6, s1, 16
	s_mul_i32 s7, s7, s6
	v_bfe_u32 v1, v0, 10, 10
	v_add_u32_e32 v6, s7, v1
	v_cmp_gt_i32_e32 vcc, s12, v6
	s_and_saveexec_b64 s[14:15], vcc
	s_cbranch_execz .LBB6_15
; %bb.4:
	s_load_dword s21, s[4:5], 0x3c
	s_load_dwordx4 s[16:19], s[4:5], 0x0
	s_load_dwordx2 s[14:15], s[4:5], 0x10
	s_mul_i32 s4, s9, s8
	s_mul_i32 s4, s4, s10
	;; [unrolled: 1-line block ×3, first 2 shown]
	s_ashr_i32 s5, s4, 31
	s_lshl_b64 s[4:5], s[4:5], 1
	s_waitcnt lgkmcnt(0)
	s_add_u32 s16, s16, s4
	s_addc_u32 s0, s17, s5
	s_mul_i32 s5, s13, s12
	s_mul_hi_i32 s4, s13, s12
	s_mul_i32 s3, s5, s3
	s_mul_hi_u32 s7, s5, s2
	s_add_i32 s3, s7, s3
	s_mul_i32 s4, s4, s2
	s_add_i32 s3, s3, s4
	s_mul_i32 s2, s5, s2
	s_lshl_b64 s[4:5], s[2:3], 1
	s_add_u32 s17, s18, s4
	s_addc_u32 s18, s19, s5
	s_lshl_b64 s[2:3], s[2:3], 3
	s_add_u32 s19, s14, s2
	v_and_b32_e32 v7, 0x3ff, v0
	s_addc_u32 s20, s15, s3
	s_mul_i32 s21, s21, s6
	s_and_b32 s22, s1, 0xffff
	v_cmp_gt_i32_e32 vcc, s13, v7
	s_mov_b64 s[6:7], 0
	v_mov_b32_e32 v1, 0
	v_mov_b32_e32 v8, s0
	s_mov_b32 s23, 0xffff0000
	s_branch .LBB6_6
.LBB6_5:                                ;   in Loop: Header=BB6_6 Depth=1
	s_or_b64 exec, exec, s[8:9]
	v_add_u32_e32 v6, s21, v6
	v_cmp_le_i32_e64 s[0:1], s12, v6
	s_or_b64 s[6:7], s[0:1], s[6:7]
	s_andn2_b64 exec, exec, s[6:7]
	s_cbranch_execz .LBB6_15
.LBB6_6:                                ; =>This Loop Header: Depth=1
                                        ;     Child Loop BB6_9 Depth 2
                                        ;       Child Loop BB6_11 Depth 3
	s_and_saveexec_b64 s[8:9], vcc
	s_cbranch_execz .LBB6_5
; %bb.7:                                ;   in Loop: Header=BB6_6 Depth=1
	v_mul_lo_u32 v2, v6, s13
	v_ashrrev_i32_e32 v3, 31, v2
	v_lshlrev_b64 v[4:5], 1, v[2:3]
	v_mov_b32_e32 v0, s18
	v_add_co_u32_e64 v9, s[0:1], s17, v4
	v_addc_co_u32_e64 v10, s[0:1], v0, v5, s[0:1]
	v_lshlrev_b64 v[2:3], 3, v[2:3]
	v_mov_b32_e32 v0, s20
	v_add_co_u32_e64 v11, s[0:1], s19, v2
	v_addc_co_u32_e64 v12, s[0:1], v0, v3, s[0:1]
	s_mov_b64 s[10:11], 0
	v_mov_b32_e32 v0, v7
	s_branch .LBB6_9
.LBB6_8:                                ;   in Loop: Header=BB6_9 Depth=2
	s_or_b64 exec, exec, s[14:15]
	v_add_u32_e32 v0, s22, v0
	v_cmp_le_i32_e64 s[0:1], s13, v0
	s_or_b64 s[10:11], s[0:1], s[10:11]
	s_andn2_b64 exec, exec, s[10:11]
	s_cbranch_execz .LBB6_5
.LBB6_9:                                ;   Parent Loop BB6_6 Depth=1
                                        ; =>  This Loop Header: Depth=2
                                        ;       Child Loop BB6_11 Depth 3
	v_lshlrev_b64 v[2:3], 3, v[0:1]
	v_add_co_u32_e64 v2, s[0:1], v11, v2
	v_addc_co_u32_e64 v3, s[0:1], v12, v3, s[0:1]
	global_load_dwordx2 v[2:3], v[2:3], off
	v_lshlrev_b64 v[4:5], 1, v[0:1]
	v_add_co_u32_e64 v4, s[0:1], v9, v4
	v_addc_co_u32_e64 v5, s[0:1], v10, v5, s[0:1]
	global_load_ushort v13, v[4:5], off
	v_mov_b32_e32 v15, v1
	s_mov_b64 s[14:15], 0
	s_waitcnt vmcnt(1)
	v_lshlrev_b64 v[2:3], 1, v[2:3]
	v_add_co_u32_e64 v4, s[0:1], s16, v2
	v_addc_co_u32_e64 v3, s[0:1], v8, v3, s[0:1]
	v_and_b32_e32 v2, -3, v4
	global_load_dword v5, v[2:3], off
	v_and_b32_e32 v14, 2, v4
	v_cmp_eq_u64_e64 s[0:1], 0, v[14:15]
	v_cmp_ne_u32_e64 s[2:3], 0, v14
	s_branch .LBB6_11
.LBB6_10:                               ;   in Loop: Header=BB6_11 Depth=3
	s_or_b64 exec, exec, s[4:5]
	global_atomic_cmpswap v4, v[2:3], v[4:5], off glc
	s_waitcnt vmcnt(0)
	v_cmp_eq_u32_e64 s[4:5], v5, v4
	s_or_b64 s[14:15], s[4:5], s[14:15]
	v_mov_b32_e32 v5, v4
	s_andn2_b64 exec, exec, s[14:15]
	s_cbranch_execz .LBB6_8
.LBB6_11:                               ;   Parent Loop BB6_6 Depth=1
                                        ;     Parent Loop BB6_9 Depth=2
                                        ; =>    This Inner Loop Header: Depth=3
	s_waitcnt vmcnt(0)
	v_lshrrev_b32_e32 v4, 16, v5
	v_cndmask_b32_e64 v4, v4, v5, s[0:1]
	v_add_f16_e32 v14, v13, v4
	s_and_saveexec_b64 s[4:5], s[2:3]
	s_xor_b64 s[4:5], exec, s[4:5]
; %bb.12:                               ;   in Loop: Header=BB6_11 Depth=3
	v_and_b32_e32 v4, 0xffff, v5
	v_lshl_or_b32 v4, v14, 16, v4
                                        ; implicit-def: $vgpr14
; %bb.13:                               ;   in Loop: Header=BB6_11 Depth=3
	s_andn2_saveexec_b64 s[4:5], s[4:5]
	s_cbranch_execz .LBB6_10
; %bb.14:                               ;   in Loop: Header=BB6_11 Depth=3
	v_and_or_b32 v4, v5, s23, v14
	s_branch .LBB6_10
.LBB6_15:
	s_endpgm
.LBB6_16:
                                        ; implicit-def: $sgpr0_sgpr1
	s_load_dword s1, s[4:5], 0x44
	s_branch .LBB6_2
	.section	.rodata,"a",@progbits
	.p2align	6, 0x0
	.amdhsa_kernel _ZN2at6native12_GLOBAL__N_126atomicadaptivemaxgradinputIN3c104HalfEEEvPT_PKS5_PKliiiiiil
		.amdhsa_group_segment_fixed_size 0
		.amdhsa_private_segment_fixed_size 0
		.amdhsa_kernarg_size 312
		.amdhsa_user_sgpr_count 6
		.amdhsa_user_sgpr_private_segment_buffer 1
		.amdhsa_user_sgpr_dispatch_ptr 0
		.amdhsa_user_sgpr_queue_ptr 0
		.amdhsa_user_sgpr_kernarg_segment_ptr 1
		.amdhsa_user_sgpr_dispatch_id 0
		.amdhsa_user_sgpr_flat_scratch_init 0
		.amdhsa_user_sgpr_kernarg_preload_length 0
		.amdhsa_user_sgpr_kernarg_preload_offset 0
		.amdhsa_user_sgpr_private_segment_size 0
		.amdhsa_uses_dynamic_stack 0
		.amdhsa_system_sgpr_private_segment_wavefront_offset 0
		.amdhsa_system_sgpr_workgroup_id_x 1
		.amdhsa_system_sgpr_workgroup_id_y 1
		.amdhsa_system_sgpr_workgroup_id_z 0
		.amdhsa_system_sgpr_workgroup_info 0
		.amdhsa_system_vgpr_workitem_id 1
		.amdhsa_next_free_vgpr 16
		.amdhsa_next_free_sgpr 28
		.amdhsa_accum_offset 16
		.amdhsa_reserve_vcc 1
		.amdhsa_reserve_flat_scratch 0
		.amdhsa_float_round_mode_32 0
		.amdhsa_float_round_mode_16_64 0
		.amdhsa_float_denorm_mode_32 3
		.amdhsa_float_denorm_mode_16_64 3
		.amdhsa_dx10_clamp 1
		.amdhsa_ieee_mode 1
		.amdhsa_fp16_overflow 0
		.amdhsa_tg_split 0
		.amdhsa_exception_fp_ieee_invalid_op 0
		.amdhsa_exception_fp_denorm_src 0
		.amdhsa_exception_fp_ieee_div_zero 0
		.amdhsa_exception_fp_ieee_overflow 0
		.amdhsa_exception_fp_ieee_underflow 0
		.amdhsa_exception_fp_ieee_inexact 0
		.amdhsa_exception_int_div_zero 0
	.end_amdhsa_kernel
	.section	.text._ZN2at6native12_GLOBAL__N_126atomicadaptivemaxgradinputIN3c104HalfEEEvPT_PKS5_PKliiiiiil,"axG",@progbits,_ZN2at6native12_GLOBAL__N_126atomicadaptivemaxgradinputIN3c104HalfEEEvPT_PKS5_PKliiiiiil,comdat
.Lfunc_end6:
	.size	_ZN2at6native12_GLOBAL__N_126atomicadaptivemaxgradinputIN3c104HalfEEEvPT_PKS5_PKliiiiiil, .Lfunc_end6-_ZN2at6native12_GLOBAL__N_126atomicadaptivemaxgradinputIN3c104HalfEEEvPT_PKS5_PKliiiiiil
                                        ; -- End function
	.section	.AMDGPU.csdata,"",@progbits
; Kernel info:
; codeLenInByte = 1284
; NumSgprs: 32
; NumVgprs: 16
; NumAgprs: 0
; TotalNumVgprs: 16
; ScratchSize: 0
; MemoryBound: 0
; FloatMode: 240
; IeeeMode: 1
; LDSByteSize: 0 bytes/workgroup (compile time only)
; SGPRBlocks: 3
; VGPRBlocks: 1
; NumSGPRsForWavesPerEU: 32
; NumVGPRsForWavesPerEU: 16
; AccumOffset: 16
; Occupancy: 8
; WaveLimiterHint : 1
; COMPUTE_PGM_RSRC2:SCRATCH_EN: 0
; COMPUTE_PGM_RSRC2:USER_SGPR: 6
; COMPUTE_PGM_RSRC2:TRAP_HANDLER: 0
; COMPUTE_PGM_RSRC2:TGID_X_EN: 1
; COMPUTE_PGM_RSRC2:TGID_Y_EN: 1
; COMPUTE_PGM_RSRC2:TGID_Z_EN: 0
; COMPUTE_PGM_RSRC2:TIDIG_COMP_CNT: 1
; COMPUTE_PGM_RSRC3_GFX90A:ACCUM_OFFSET: 3
; COMPUTE_PGM_RSRC3_GFX90A:TG_SPLIT: 0
	.section	.text._ZN2at6native12_GLOBAL__N_126atomicadaptivemaxgradinputIN3c108BFloat16EEEvPT_PKS5_PKliiiiiil,"axG",@progbits,_ZN2at6native12_GLOBAL__N_126atomicadaptivemaxgradinputIN3c108BFloat16EEEvPT_PKS5_PKliiiiiil,comdat
	.globl	_ZN2at6native12_GLOBAL__N_126atomicadaptivemaxgradinputIN3c108BFloat16EEEvPT_PKS5_PKliiiiiil ; -- Begin function _ZN2at6native12_GLOBAL__N_126atomicadaptivemaxgradinputIN3c108BFloat16EEEvPT_PKS5_PKliiiiiil
	.p2align	8
	.type	_ZN2at6native12_GLOBAL__N_126atomicadaptivemaxgradinputIN3c108BFloat16EEEvPT_PKS5_PKliiiiiil,@function
_ZN2at6native12_GLOBAL__N_126atomicadaptivemaxgradinputIN3c108BFloat16EEEvPT_PKS5_PKliiiiiil: ; @_ZN2at6native12_GLOBAL__N_126atomicadaptivemaxgradinputIN3c108BFloat16EEEvPT_PKS5_PKliiiiiil
; %bb.0:
	s_load_dwordx8 s[8:15], s[4:5], 0x18
	s_mov_b32 s0, 0
	s_waitcnt lgkmcnt(0)
	s_add_u32 s2, s6, s14
	s_addc_u32 s3, 0, s15
	s_ashr_i32 s15, s11, 31
	s_mov_b32 s14, s11
	s_or_b64 s[16:17], s[2:3], s[14:15]
	s_mov_b32 s1, s17
	s_cmp_lg_u64 s[0:1], 0
	s_cbranch_scc0 .LBB7_16
; %bb.1:
	s_add_u32 s0, s14, s15
	s_mov_b32 s16, s15
	s_mov_b32 s17, s15
	s_addc_u32 s1, s15, s15
	s_xor_b64 s[20:21], s[0:1], s[16:17]
	v_cvt_f32_u32_e32 v1, s20
	v_cvt_f32_u32_e32 v2, s21
	s_sub_u32 s0, 0, s20
	s_subb_u32 s1, 0, s21
	v_madmk_f32 v1, v2, 0x4f800000, v1
	v_rcp_f32_e32 v1, v1
	v_mul_f32_e32 v1, 0x5f7ffffc, v1
	v_mul_f32_e32 v2, 0x2f800000, v1
	v_trunc_f32_e32 v2, v2
	v_madmk_f32 v1, v2, 0xcf800000, v1
	v_cvt_u32_f32_e32 v2, v2
	v_cvt_u32_f32_e32 v1, v1
	v_readfirstlane_b32 s6, v2
	v_readfirstlane_b32 s11, v1
	s_mul_i32 s15, s0, s6
	s_mul_hi_u32 s23, s0, s11
	s_mul_i32 s22, s1, s11
	s_add_i32 s15, s23, s15
	s_add_i32 s15, s15, s22
	s_mul_i32 s24, s0, s11
	s_mul_hi_u32 s22, s11, s15
	s_mul_i32 s23, s11, s15
	s_mul_hi_u32 s11, s11, s24
	s_add_u32 s11, s11, s23
	s_addc_u32 s22, 0, s22
	s_mul_hi_u32 s25, s6, s24
	s_mul_i32 s24, s6, s24
	s_add_u32 s11, s11, s24
	s_mul_hi_u32 s23, s6, s15
	s_addc_u32 s11, s22, s25
	s_addc_u32 s22, s23, 0
	s_mul_i32 s15, s6, s15
	s_add_u32 s11, s11, s15
	s_addc_u32 s15, 0, s22
	v_add_co_u32_e32 v1, vcc, s11, v1
	s_cmp_lg_u64 vcc, 0
	s_addc_u32 s6, s6, s15
	v_readfirstlane_b32 s15, v1
	s_mul_i32 s11, s0, s6
	s_mul_hi_u32 s22, s0, s15
	s_add_i32 s11, s22, s11
	s_mul_i32 s1, s1, s15
	s_add_i32 s11, s11, s1
	s_mul_i32 s0, s0, s15
	s_mul_hi_u32 s22, s6, s0
	s_mul_i32 s23, s6, s0
	s_mul_i32 s25, s15, s11
	s_mul_hi_u32 s0, s15, s0
	s_mul_hi_u32 s24, s15, s11
	s_add_u32 s0, s0, s25
	s_addc_u32 s15, 0, s24
	s_add_u32 s0, s0, s23
	s_mul_hi_u32 s1, s6, s11
	s_addc_u32 s0, s15, s22
	s_addc_u32 s1, s1, 0
	s_mul_i32 s11, s6, s11
	s_add_u32 s0, s0, s11
	s_addc_u32 s1, 0, s1
	v_add_co_u32_e32 v1, vcc, s0, v1
	s_cmp_lg_u64 vcc, 0
	s_addc_u32 s6, s6, s1
	s_ashr_i32 s22, s3, 31
	s_add_u32 s0, s2, s22
	s_mov_b32 s23, s22
	s_addc_u32 s1, s3, s22
	s_xor_b64 s[24:25], s[0:1], s[22:23]
	v_readfirstlane_b32 s11, v1
	s_mul_i32 s1, s24, s6
	s_mul_hi_u32 s15, s24, s11
	s_mul_hi_u32 s0, s24, s6
	s_add_u32 s1, s15, s1
	s_addc_u32 s0, 0, s0
	s_mul_hi_u32 s26, s25, s11
	s_mul_i32 s11, s25, s11
	s_add_u32 s1, s1, s11
	s_mul_hi_u32 s15, s25, s6
	s_addc_u32 s0, s0, s26
	s_addc_u32 s1, s15, 0
	s_mul_i32 s6, s25, s6
	s_add_u32 s6, s0, s6
	s_addc_u32 s11, 0, s1
	s_mul_i32 s0, s20, s11
	s_mul_hi_u32 s1, s20, s6
	s_add_i32 s0, s1, s0
	s_mul_i32 s1, s21, s6
	s_add_i32 s15, s0, s1
	s_mul_i32 s1, s20, s6
	v_mov_b32_e32 v1, s1
	s_sub_i32 s0, s25, s15
	v_sub_co_u32_e32 v1, vcc, s24, v1
	s_cmp_lg_u64 vcc, 0
	s_subb_u32 s24, s0, s21
	v_subrev_co_u32_e64 v2, s[0:1], s20, v1
	s_cmp_lg_u64 s[0:1], 0
	s_subb_u32 s0, s24, 0
	s_cmp_ge_u32 s0, s21
	v_readfirstlane_b32 s24, v2
	s_cselect_b32 s1, -1, 0
	s_cmp_ge_u32 s24, s20
	s_cselect_b32 s24, -1, 0
	s_cmp_eq_u32 s0, s21
	s_cselect_b32 s0, s24, s1
	s_add_u32 s1, s6, 1
	s_addc_u32 s24, s11, 0
	s_add_u32 s26, s6, 2
	s_addc_u32 s27, s11, 0
	s_cmp_lg_u32 s0, 0
	s_cselect_b32 s0, s26, s1
	s_cselect_b32 s1, s27, s24
	s_cmp_lg_u64 vcc, 0
	s_subb_u32 s15, s25, s15
	s_cmp_ge_u32 s15, s21
	v_readfirstlane_b32 s25, v1
	s_cselect_b32 s24, -1, 0
	s_cmp_ge_u32 s25, s20
	s_cselect_b32 s20, -1, 0
	s_cmp_eq_u32 s15, s21
	s_cselect_b32 s15, s20, s24
	s_cmp_lg_u32 s15, 0
	s_cselect_b32 s1, s1, s11
	s_cselect_b32 s0, s0, s6
	s_xor_b64 s[16:17], s[22:23], s[16:17]
	s_xor_b64 s[0:1], s[0:1], s[16:17]
	s_sub_u32 s0, s0, s16
	s_load_dword s1, s[4:5], 0x44
	s_cbranch_execnz .LBB7_3
.LBB7_2:
	v_cvt_f32_u32_e32 v1, s14
	s_sub_i32 s0, 0, s14
	v_rcp_iflag_f32_e32 v1, v1
	v_mul_f32_e32 v1, 0x4f7ffffe, v1
	v_cvt_u32_f32_e32 v1, v1
	v_readfirstlane_b32 s6, v1
	s_mul_i32 s0, s0, s6
	s_mul_hi_u32 s0, s6, s0
	s_add_i32 s6, s6, s0
	s_mul_hi_u32 s0, s2, s6
	s_mul_i32 s11, s0, s14
	s_sub_i32 s11, s2, s11
	s_add_i32 s6, s0, 1
	s_sub_i32 s15, s11, s14
	s_cmp_ge_u32 s11, s14
	s_cselect_b32 s0, s6, s0
	s_cselect_b32 s11, s15, s11
	s_add_i32 s6, s0, 1
	s_cmp_ge_u32 s11, s14
	s_cselect_b32 s0, s6, s0
.LBB7_3:
	s_waitcnt lgkmcnt(0)
	s_lshr_b32 s6, s1, 16
	s_mul_i32 s7, s7, s6
	v_bfe_u32 v1, v0, 10, 10
	v_add_u32_e32 v6, s7, v1
	v_cmp_gt_i32_e32 vcc, s12, v6
	s_and_saveexec_b64 s[14:15], vcc
	s_cbranch_execz .LBB7_15
; %bb.4:
	s_load_dword s21, s[4:5], 0x3c
	s_load_dwordx4 s[16:19], s[4:5], 0x0
	s_load_dwordx2 s[14:15], s[4:5], 0x10
	s_mul_i32 s4, s9, s8
	s_mul_i32 s4, s4, s10
	;; [unrolled: 1-line block ×3, first 2 shown]
	s_ashr_i32 s5, s4, 31
	s_lshl_b64 s[4:5], s[4:5], 1
	s_waitcnt lgkmcnt(0)
	s_add_u32 s16, s16, s4
	s_addc_u32 s0, s17, s5
	s_mul_i32 s5, s13, s12
	s_mul_hi_i32 s4, s13, s12
	s_mul_i32 s3, s5, s3
	s_mul_hi_u32 s7, s5, s2
	s_add_i32 s3, s7, s3
	s_mul_i32 s4, s4, s2
	s_add_i32 s3, s3, s4
	s_mul_i32 s2, s5, s2
	s_lshl_b64 s[4:5], s[2:3], 1
	s_add_u32 s17, s18, s4
	s_addc_u32 s18, s19, s5
	s_lshl_b64 s[2:3], s[2:3], 3
	s_add_u32 s19, s14, s2
	v_and_b32_e32 v7, 0x3ff, v0
	s_addc_u32 s20, s15, s3
	s_mul_i32 s21, s21, s6
	s_and_b32 s22, s1, 0xffff
	v_cmp_gt_i32_e32 vcc, s13, v7
	s_mov_b64 s[6:7], 0
	v_mov_b32_e32 v1, 0
	v_mov_b32_e32 v8, s0
	s_movk_i32 s23, 0x7fff
	s_mov_b32 s24, 0xffff0000
	v_mov_b32_e32 v9, 0x7fc0
	s_branch .LBB7_6
.LBB7_5:                                ;   in Loop: Header=BB7_6 Depth=1
	s_or_b64 exec, exec, s[8:9]
	v_add_u32_e32 v6, s21, v6
	v_cmp_le_i32_e64 s[0:1], s12, v6
	s_or_b64 s[6:7], s[0:1], s[6:7]
	s_andn2_b64 exec, exec, s[6:7]
	s_cbranch_execz .LBB7_15
.LBB7_6:                                ; =>This Loop Header: Depth=1
                                        ;     Child Loop BB7_9 Depth 2
                                        ;       Child Loop BB7_11 Depth 3
	s_and_saveexec_b64 s[8:9], vcc
	s_cbranch_execz .LBB7_5
; %bb.7:                                ;   in Loop: Header=BB7_6 Depth=1
	v_mul_lo_u32 v2, v6, s13
	v_ashrrev_i32_e32 v3, 31, v2
	v_lshlrev_b64 v[4:5], 1, v[2:3]
	v_mov_b32_e32 v0, s18
	v_add_co_u32_e64 v10, s[0:1], s17, v4
	v_addc_co_u32_e64 v11, s[0:1], v0, v5, s[0:1]
	v_lshlrev_b64 v[2:3], 3, v[2:3]
	v_mov_b32_e32 v0, s20
	v_add_co_u32_e64 v12, s[0:1], s19, v2
	v_addc_co_u32_e64 v13, s[0:1], v0, v3, s[0:1]
	s_mov_b64 s[10:11], 0
	v_mov_b32_e32 v0, v7
	s_branch .LBB7_9
.LBB7_8:                                ;   in Loop: Header=BB7_9 Depth=2
	s_or_b64 exec, exec, s[14:15]
	v_add_u32_e32 v0, s22, v0
	v_cmp_le_i32_e64 s[0:1], s13, v0
	s_or_b64 s[10:11], s[0:1], s[10:11]
	s_andn2_b64 exec, exec, s[10:11]
	s_cbranch_execz .LBB7_5
.LBB7_9:                                ;   Parent Loop BB7_6 Depth=1
                                        ; =>  This Loop Header: Depth=2
                                        ;       Child Loop BB7_11 Depth 3
	v_lshlrev_b64 v[2:3], 3, v[0:1]
	v_add_co_u32_e64 v2, s[0:1], v12, v2
	v_addc_co_u32_e64 v3, s[0:1], v13, v3, s[0:1]
	global_load_dwordx2 v[2:3], v[2:3], off
	v_lshlrev_b64 v[4:5], 1, v[0:1]
	v_add_co_u32_e64 v4, s[0:1], v10, v4
	v_addc_co_u32_e64 v5, s[0:1], v11, v5, s[0:1]
	global_load_ushort v4, v[4:5], off
	v_mov_b32_e32 v15, v1
	s_mov_b64 s[14:15], 0
	s_waitcnt vmcnt(1)
	v_lshlrev_b64 v[2:3], 1, v[2:3]
	v_add_co_u32_e64 v14, s[0:1], s16, v2
	v_addc_co_u32_e64 v3, s[0:1], v8, v3, s[0:1]
	v_and_b32_e32 v2, -3, v14
	global_load_dword v5, v[2:3], off
	v_and_b32_e32 v14, 2, v14
	v_cmp_eq_u64_e64 s[0:1], 0, v[14:15]
	v_cmp_ne_u32_e64 s[2:3], 0, v14
	s_waitcnt vmcnt(1)
	v_lshlrev_b32_e32 v14, 16, v4
	s_branch .LBB7_11
.LBB7_10:                               ;   in Loop: Header=BB7_11 Depth=3
	s_or_b64 exec, exec, s[4:5]
	global_atomic_cmpswap v4, v[2:3], v[4:5], off glc
	s_waitcnt vmcnt(0)
	v_cmp_eq_u32_e64 s[4:5], v5, v4
	s_or_b64 s[14:15], s[4:5], s[14:15]
	v_mov_b32_e32 v5, v4
	s_andn2_b64 exec, exec, s[14:15]
	s_cbranch_execz .LBB7_8
.LBB7_11:                               ;   Parent Loop BB7_6 Depth=1
                                        ;     Parent Loop BB7_9 Depth=2
                                        ; =>    This Inner Loop Header: Depth=3
	s_waitcnt vmcnt(0)
	v_lshrrev_b32_e32 v4, 16, v5
	v_cndmask_b32_e64 v4, v4, v5, s[0:1]
	v_lshlrev_b32_e32 v4, 16, v4
	v_add_f32_e32 v4, v14, v4
	v_bfe_u32 v15, v4, 16, 1
	v_add3_u32 v15, v4, v15, s23
	v_lshrrev_b32_e32 v15, 16, v15
	v_cmp_o_f32_e64 s[4:5], v4, v4
	v_cndmask_b32_e64 v15, v9, v15, s[4:5]
	s_and_saveexec_b64 s[4:5], s[2:3]
	s_xor_b64 s[4:5], exec, s[4:5]
; %bb.12:                               ;   in Loop: Header=BB7_11 Depth=3
	v_and_b32_e32 v4, 0xffff, v5
	v_lshl_or_b32 v4, v15, 16, v4
                                        ; implicit-def: $vgpr15
; %bb.13:                               ;   in Loop: Header=BB7_11 Depth=3
	s_andn2_saveexec_b64 s[4:5], s[4:5]
	s_cbranch_execz .LBB7_10
; %bb.14:                               ;   in Loop: Header=BB7_11 Depth=3
	v_and_or_b32 v4, v5, s24, v15
	s_branch .LBB7_10
.LBB7_15:
	s_endpgm
.LBB7_16:
                                        ; implicit-def: $sgpr0_sgpr1
	s_load_dword s1, s[4:5], 0x44
	s_branch .LBB7_2
	.section	.rodata,"a",@progbits
	.p2align	6, 0x0
	.amdhsa_kernel _ZN2at6native12_GLOBAL__N_126atomicadaptivemaxgradinputIN3c108BFloat16EEEvPT_PKS5_PKliiiiiil
		.amdhsa_group_segment_fixed_size 0
		.amdhsa_private_segment_fixed_size 0
		.amdhsa_kernarg_size 312
		.amdhsa_user_sgpr_count 6
		.amdhsa_user_sgpr_private_segment_buffer 1
		.amdhsa_user_sgpr_dispatch_ptr 0
		.amdhsa_user_sgpr_queue_ptr 0
		.amdhsa_user_sgpr_kernarg_segment_ptr 1
		.amdhsa_user_sgpr_dispatch_id 0
		.amdhsa_user_sgpr_flat_scratch_init 0
		.amdhsa_user_sgpr_kernarg_preload_length 0
		.amdhsa_user_sgpr_kernarg_preload_offset 0
		.amdhsa_user_sgpr_private_segment_size 0
		.amdhsa_uses_dynamic_stack 0
		.amdhsa_system_sgpr_private_segment_wavefront_offset 0
		.amdhsa_system_sgpr_workgroup_id_x 1
		.amdhsa_system_sgpr_workgroup_id_y 1
		.amdhsa_system_sgpr_workgroup_id_z 0
		.amdhsa_system_sgpr_workgroup_info 0
		.amdhsa_system_vgpr_workitem_id 1
		.amdhsa_next_free_vgpr 16
		.amdhsa_next_free_sgpr 28
		.amdhsa_accum_offset 16
		.amdhsa_reserve_vcc 1
		.amdhsa_reserve_flat_scratch 0
		.amdhsa_float_round_mode_32 0
		.amdhsa_float_round_mode_16_64 0
		.amdhsa_float_denorm_mode_32 3
		.amdhsa_float_denorm_mode_16_64 3
		.amdhsa_dx10_clamp 1
		.amdhsa_ieee_mode 1
		.amdhsa_fp16_overflow 0
		.amdhsa_tg_split 0
		.amdhsa_exception_fp_ieee_invalid_op 0
		.amdhsa_exception_fp_denorm_src 0
		.amdhsa_exception_fp_ieee_div_zero 0
		.amdhsa_exception_fp_ieee_overflow 0
		.amdhsa_exception_fp_ieee_underflow 0
		.amdhsa_exception_fp_ieee_inexact 0
		.amdhsa_exception_int_div_zero 0
	.end_amdhsa_kernel
	.section	.text._ZN2at6native12_GLOBAL__N_126atomicadaptivemaxgradinputIN3c108BFloat16EEEvPT_PKS5_PKliiiiiil,"axG",@progbits,_ZN2at6native12_GLOBAL__N_126atomicadaptivemaxgradinputIN3c108BFloat16EEEvPT_PKS5_PKliiiiiil,comdat
.Lfunc_end7:
	.size	_ZN2at6native12_GLOBAL__N_126atomicadaptivemaxgradinputIN3c108BFloat16EEEvPT_PKS5_PKliiiiiil, .Lfunc_end7-_ZN2at6native12_GLOBAL__N_126atomicadaptivemaxgradinputIN3c108BFloat16EEEvPT_PKS5_PKliiiiiil
                                        ; -- End function
	.section	.AMDGPU.csdata,"",@progbits
; Kernel info:
; codeLenInByte = 1344
; NumSgprs: 32
; NumVgprs: 16
; NumAgprs: 0
; TotalNumVgprs: 16
; ScratchSize: 0
; MemoryBound: 0
; FloatMode: 240
; IeeeMode: 1
; LDSByteSize: 0 bytes/workgroup (compile time only)
; SGPRBlocks: 3
; VGPRBlocks: 1
; NumSGPRsForWavesPerEU: 32
; NumVGPRsForWavesPerEU: 16
; AccumOffset: 16
; Occupancy: 8
; WaveLimiterHint : 1
; COMPUTE_PGM_RSRC2:SCRATCH_EN: 0
; COMPUTE_PGM_RSRC2:USER_SGPR: 6
; COMPUTE_PGM_RSRC2:TRAP_HANDLER: 0
; COMPUTE_PGM_RSRC2:TGID_X_EN: 1
; COMPUTE_PGM_RSRC2:TGID_Y_EN: 1
; COMPUTE_PGM_RSRC2:TGID_Z_EN: 0
; COMPUTE_PGM_RSRC2:TIDIG_COMP_CNT: 1
; COMPUTE_PGM_RSRC3_GFX90A:ACCUM_OFFSET: 3
; COMPUTE_PGM_RSRC3_GFX90A:TG_SPLIT: 0
	.section	.text._ZN2at6native12_GLOBAL__N_120adaptivemaxgradinputIdEEvPT_PKS3_PKliiiiiil,"axG",@progbits,_ZN2at6native12_GLOBAL__N_120adaptivemaxgradinputIdEEvPT_PKS3_PKliiiiiil,comdat
	.globl	_ZN2at6native12_GLOBAL__N_120adaptivemaxgradinputIdEEvPT_PKS3_PKliiiiiil ; -- Begin function _ZN2at6native12_GLOBAL__N_120adaptivemaxgradinputIdEEvPT_PKS3_PKliiiiiil
	.p2align	8
	.type	_ZN2at6native12_GLOBAL__N_120adaptivemaxgradinputIdEEvPT_PKS3_PKliiiiiil,@function
_ZN2at6native12_GLOBAL__N_120adaptivemaxgradinputIdEEvPT_PKS3_PKliiiiiil: ; @_ZN2at6native12_GLOBAL__N_120adaptivemaxgradinputIdEEvPT_PKS3_PKliiiiiil
; %bb.0:
	s_load_dwordx8 s[8:15], s[4:5], 0x18
	s_mov_b32 s0, 0
	s_waitcnt lgkmcnt(0)
	s_add_u32 s14, s6, s14
	s_addc_u32 s15, 0, s15
	s_ashr_i32 s3, s11, 31
	s_mov_b32 s2, s11
	s_or_b64 s[16:17], s[14:15], s[2:3]
	s_mov_b32 s1, s17
	s_cmp_lg_u64 s[0:1], 0
	s_cbranch_scc0 .LBB8_10
; %bb.1:
	s_add_u32 s0, s2, s3
	s_mov_b32 s16, s3
	s_mov_b32 s17, s3
	s_addc_u32 s1, s3, s3
	s_xor_b64 s[20:21], s[0:1], s[16:17]
	v_cvt_f32_u32_e32 v1, s20
	v_cvt_f32_u32_e32 v2, s21
	s_sub_u32 s0, 0, s20
	s_subb_u32 s1, 0, s21
	v_madmk_f32 v1, v2, 0x4f800000, v1
	v_rcp_f32_e32 v1, v1
	v_mul_f32_e32 v1, 0x5f7ffffc, v1
	v_mul_f32_e32 v2, 0x2f800000, v1
	v_trunc_f32_e32 v2, v2
	v_madmk_f32 v1, v2, 0xcf800000, v1
	v_cvt_u32_f32_e32 v2, v2
	v_cvt_u32_f32_e32 v1, v1
	v_readfirstlane_b32 s3, v2
	v_readfirstlane_b32 s6, v1
	s_mul_i32 s11, s0, s3
	s_mul_hi_u32 s23, s0, s6
	s_mul_i32 s22, s1, s6
	s_add_i32 s11, s23, s11
	s_add_i32 s11, s11, s22
	s_mul_i32 s24, s0, s6
	s_mul_hi_u32 s22, s6, s11
	s_mul_i32 s23, s6, s11
	s_mul_hi_u32 s6, s6, s24
	s_add_u32 s6, s6, s23
	s_addc_u32 s22, 0, s22
	s_mul_hi_u32 s25, s3, s24
	s_mul_i32 s24, s3, s24
	s_add_u32 s6, s6, s24
	s_mul_hi_u32 s23, s3, s11
	s_addc_u32 s6, s22, s25
	s_addc_u32 s22, s23, 0
	s_mul_i32 s11, s3, s11
	s_add_u32 s6, s6, s11
	s_addc_u32 s11, 0, s22
	v_add_co_u32_e32 v1, vcc, s6, v1
	s_cmp_lg_u64 vcc, 0
	s_addc_u32 s3, s3, s11
	v_readfirstlane_b32 s11, v1
	s_mul_i32 s6, s0, s3
	s_mul_hi_u32 s22, s0, s11
	s_add_i32 s6, s22, s6
	s_mul_i32 s1, s1, s11
	s_add_i32 s6, s6, s1
	s_mul_i32 s0, s0, s11
	s_mul_hi_u32 s22, s3, s0
	s_mul_i32 s23, s3, s0
	s_mul_i32 s25, s11, s6
	s_mul_hi_u32 s0, s11, s0
	s_mul_hi_u32 s24, s11, s6
	s_add_u32 s0, s0, s25
	s_addc_u32 s11, 0, s24
	s_add_u32 s0, s0, s23
	s_mul_hi_u32 s1, s3, s6
	s_addc_u32 s0, s11, s22
	s_addc_u32 s1, s1, 0
	s_mul_i32 s6, s3, s6
	s_add_u32 s0, s0, s6
	s_addc_u32 s1, 0, s1
	v_add_co_u32_e32 v1, vcc, s0, v1
	s_cmp_lg_u64 vcc, 0
	s_addc_u32 s3, s3, s1
	s_ashr_i32 s22, s15, 31
	s_add_u32 s0, s14, s22
	s_mov_b32 s23, s22
	s_addc_u32 s1, s15, s22
	s_xor_b64 s[24:25], s[0:1], s[22:23]
	v_readfirstlane_b32 s6, v1
	s_mul_i32 s1, s24, s3
	s_mul_hi_u32 s11, s24, s6
	s_mul_hi_u32 s0, s24, s3
	s_add_u32 s1, s11, s1
	s_addc_u32 s0, 0, s0
	s_mul_hi_u32 s26, s25, s6
	s_mul_i32 s6, s25, s6
	s_add_u32 s1, s1, s6
	s_mul_hi_u32 s11, s25, s3
	s_addc_u32 s0, s0, s26
	s_addc_u32 s1, s11, 0
	s_mul_i32 s3, s25, s3
	s_add_u32 s3, s0, s3
	s_addc_u32 s6, 0, s1
	s_mul_i32 s0, s20, s6
	s_mul_hi_u32 s1, s20, s3
	s_add_i32 s0, s1, s0
	s_mul_i32 s1, s21, s3
	s_add_i32 s11, s0, s1
	s_mul_i32 s1, s20, s3
	v_mov_b32_e32 v1, s1
	s_sub_i32 s0, s25, s11
	v_sub_co_u32_e32 v1, vcc, s24, v1
	s_cmp_lg_u64 vcc, 0
	s_subb_u32 s24, s0, s21
	v_subrev_co_u32_e64 v2, s[0:1], s20, v1
	s_cmp_lg_u64 s[0:1], 0
	s_subb_u32 s0, s24, 0
	s_cmp_ge_u32 s0, s21
	v_readfirstlane_b32 s24, v2
	s_cselect_b32 s1, -1, 0
	s_cmp_ge_u32 s24, s20
	s_cselect_b32 s24, -1, 0
	s_cmp_eq_u32 s0, s21
	s_cselect_b32 s0, s24, s1
	s_add_u32 s1, s3, 1
	s_addc_u32 s24, s6, 0
	s_add_u32 s26, s3, 2
	s_addc_u32 s27, s6, 0
	s_cmp_lg_u32 s0, 0
	s_cselect_b32 s0, s26, s1
	s_cselect_b32 s1, s27, s24
	s_cmp_lg_u64 vcc, 0
	s_subb_u32 s11, s25, s11
	s_cmp_ge_u32 s11, s21
	v_readfirstlane_b32 s25, v1
	s_cselect_b32 s24, -1, 0
	s_cmp_ge_u32 s25, s20
	s_cselect_b32 s20, -1, 0
	s_cmp_eq_u32 s11, s21
	s_cselect_b32 s11, s20, s24
	s_cmp_lg_u32 s11, 0
	s_cselect_b32 s1, s1, s6
	s_cselect_b32 s0, s0, s3
	s_xor_b64 s[16:17], s[22:23], s[16:17]
	s_xor_b64 s[0:1], s[0:1], s[16:17]
	s_sub_u32 s16, s0, s16
	s_load_dword s11, s[4:5], 0x44
	s_cbranch_execnz .LBB8_3
.LBB8_2:
	v_cvt_f32_u32_e32 v1, s2
	s_sub_i32 s0, 0, s2
	v_rcp_iflag_f32_e32 v1, v1
	v_mul_f32_e32 v1, 0x4f7ffffe, v1
	v_cvt_u32_f32_e32 v1, v1
	v_readfirstlane_b32 s1, v1
	s_mul_i32 s0, s0, s1
	s_mul_hi_u32 s0, s1, s0
	s_add_i32 s1, s1, s0
	s_mul_hi_u32 s0, s14, s1
	s_mul_i32 s3, s0, s2
	s_sub_i32 s3, s14, s3
	s_add_i32 s1, s0, 1
	s_sub_i32 s6, s3, s2
	s_cmp_ge_u32 s3, s2
	s_cselect_b32 s0, s1, s0
	s_cselect_b32 s3, s6, s3
	s_add_i32 s1, s0, 1
	s_cmp_ge_u32 s3, s2
	s_cselect_b32 s16, s1, s0
.LBB8_3:
	s_waitcnt lgkmcnt(0)
	s_lshr_b32 s18, s11, 16
	s_mul_i32 s7, s7, s18
	v_bfe_u32 v1, v0, 10, 10
	v_add_u32_e32 v5, s7, v1
	v_cmp_gt_i32_e32 vcc, s12, v5
	s_and_saveexec_b64 s[0:1], vcc
	s_cbranch_execz .LBB8_9
; %bb.4:
	s_load_dword s19, s[4:5], 0x3c
	s_load_dwordx4 s[0:3], s[4:5], 0x0
	s_load_dwordx2 s[6:7], s[4:5], 0x10
	s_mul_i32 s4, s9, s8
	s_mul_i32 s4, s4, s10
	;; [unrolled: 1-line block ×3, first 2 shown]
	s_ashr_i32 s5, s4, 31
	s_lshl_b64 s[4:5], s[4:5], 3
	s_waitcnt lgkmcnt(0)
	s_add_u32 s16, s0, s4
	s_addc_u32 s17, s1, s5
	s_ashr_i32 s1, s13, 31
	s_mul_hi_u32 s4, s14, s13
	s_mul_i32 s1, s14, s1
	s_add_i32 s1, s4, s1
	s_mul_i32 s4, s15, s13
	s_ashr_i32 s0, s12, 31
	s_add_i32 s1, s1, s4
	s_mul_i32 s4, s14, s13
	s_mul_i32 s0, s4, s0
	s_mul_hi_u32 s5, s4, s12
	s_add_i32 s0, s5, s0
	s_mul_i32 s1, s1, s12
	v_and_b32_e32 v6, 0x3ff, v0
	s_add_i32 s1, s0, s1
	s_mul_i32 s0, s4, s12
	s_lshl_b64 s[0:1], s[0:1], 3
	v_lshlrev_b32_e32 v0, 3, v6
	s_mul_i32 s18, s19, s18
	s_and_b32 s19, s11, 0xffff
	v_mov_b32_e32 v1, s1
	v_add_co_u32_e64 v7, s[0:1], s0, v0
	v_cmp_gt_i32_e32 vcc, s13, v6
	s_mov_b32 s14, 0
	v_addc_co_u32_e64 v8, s[0:1], 0, v1, s[0:1]
	v_mul_lo_u32 v0, s13, v5
	s_mul_i32 s15, s18, s13
	s_lshl_b32 s20, s19, 3
	s_mov_b64 s[4:5], 0
	v_mov_b32_e32 v2, 0
	s_branch .LBB8_6
.LBB8_5:                                ;   in Loop: Header=BB8_6 Depth=1
	s_or_b64 exec, exec, s[8:9]
	v_add_u32_e32 v5, s18, v5
	v_cmp_le_i32_e64 s[0:1], s12, v5
	s_or_b64 s[4:5], s[0:1], s[4:5]
	v_add_u32_e32 v0, s15, v0
	s_andn2_b64 exec, exec, s[4:5]
	s_cbranch_execz .LBB8_9
.LBB8_6:                                ; =>This Loop Header: Depth=1
                                        ;     Child Loop BB8_8 Depth 2
	s_and_saveexec_b64 s[8:9], vcc
	s_cbranch_execz .LBB8_5
; %bb.7:                                ;   in Loop: Header=BB8_6 Depth=1
	v_ashrrev_i32_e32 v1, 31, v0
	v_lshlrev_b64 v[10:11], 3, v[0:1]
	v_add_co_u32_e64 v4, s[0:1], v7, v10
	v_addc_co_u32_e64 v1, s[0:1], v8, v11, s[0:1]
	s_mov_b64 s[10:11], 0
	v_mov_b32_e32 v9, v6
.LBB8_8:                                ;   Parent Loop BB8_6 Depth=1
                                        ; =>  This Inner Loop Header: Depth=2
	v_mov_b32_e32 v3, s7
	v_add_co_u32_e64 v10, s[0:1], s6, v4
	v_addc_co_u32_e64 v11, s[0:1], v3, v1, s[0:1]
	global_load_dword v3, v[10:11], off
	v_mov_b32_e32 v11, s3
	v_add_co_u32_e64 v10, s[0:1], s2, v4
	v_addc_co_u32_e64 v11, s[0:1], v11, v1, s[0:1]
	v_mov_b32_e32 v14, s17
	global_load_dwordx2 v[10:11], v[10:11], off
	v_add_u32_e32 v9, s19, v9
	s_waitcnt vmcnt(1)
	v_ashrrev_i64 v[12:13], 29, v[2:3]
	v_add_co_u32_e64 v12, s[0:1], s16, v12
	v_addc_co_u32_e64 v13, s[0:1], v14, v13, s[0:1]
	global_load_dwordx2 v[14:15], v[12:13], off
	v_mov_b32_e32 v3, s14
	v_add_co_u32_e64 v4, s[0:1], s20, v4
	v_addc_co_u32_e64 v1, s[0:1], v1, v3, s[0:1]
	v_cmp_le_i32_e64 s[0:1], s13, v9
	s_or_b64 s[10:11], s[0:1], s[10:11]
	s_waitcnt vmcnt(0)
	v_add_f64 v[10:11], v[10:11], v[14:15]
	global_store_dwordx2 v[12:13], v[10:11], off
	s_andn2_b64 exec, exec, s[10:11]
	s_cbranch_execnz .LBB8_8
	s_branch .LBB8_5
.LBB8_9:
	s_endpgm
.LBB8_10:
                                        ; implicit-def: $sgpr16_sgpr17
	s_load_dword s11, s[4:5], 0x44
	s_branch .LBB8_2
	.section	.rodata,"a",@progbits
	.p2align	6, 0x0
	.amdhsa_kernel _ZN2at6native12_GLOBAL__N_120adaptivemaxgradinputIdEEvPT_PKS3_PKliiiiiil
		.amdhsa_group_segment_fixed_size 0
		.amdhsa_private_segment_fixed_size 0
		.amdhsa_kernarg_size 312
		.amdhsa_user_sgpr_count 6
		.amdhsa_user_sgpr_private_segment_buffer 1
		.amdhsa_user_sgpr_dispatch_ptr 0
		.amdhsa_user_sgpr_queue_ptr 0
		.amdhsa_user_sgpr_kernarg_segment_ptr 1
		.amdhsa_user_sgpr_dispatch_id 0
		.amdhsa_user_sgpr_flat_scratch_init 0
		.amdhsa_user_sgpr_kernarg_preload_length 0
		.amdhsa_user_sgpr_kernarg_preload_offset 0
		.amdhsa_user_sgpr_private_segment_size 0
		.amdhsa_uses_dynamic_stack 0
		.amdhsa_system_sgpr_private_segment_wavefront_offset 0
		.amdhsa_system_sgpr_workgroup_id_x 1
		.amdhsa_system_sgpr_workgroup_id_y 1
		.amdhsa_system_sgpr_workgroup_id_z 0
		.amdhsa_system_sgpr_workgroup_info 0
		.amdhsa_system_vgpr_workitem_id 1
		.amdhsa_next_free_vgpr 16
		.amdhsa_next_free_sgpr 28
		.amdhsa_accum_offset 16
		.amdhsa_reserve_vcc 1
		.amdhsa_reserve_flat_scratch 0
		.amdhsa_float_round_mode_32 0
		.amdhsa_float_round_mode_16_64 0
		.amdhsa_float_denorm_mode_32 3
		.amdhsa_float_denorm_mode_16_64 3
		.amdhsa_dx10_clamp 1
		.amdhsa_ieee_mode 1
		.amdhsa_fp16_overflow 0
		.amdhsa_tg_split 0
		.amdhsa_exception_fp_ieee_invalid_op 0
		.amdhsa_exception_fp_denorm_src 0
		.amdhsa_exception_fp_ieee_div_zero 0
		.amdhsa_exception_fp_ieee_overflow 0
		.amdhsa_exception_fp_ieee_underflow 0
		.amdhsa_exception_fp_ieee_inexact 0
		.amdhsa_exception_int_div_zero 0
	.end_amdhsa_kernel
	.section	.text._ZN2at6native12_GLOBAL__N_120adaptivemaxgradinputIdEEvPT_PKS3_PKliiiiiil,"axG",@progbits,_ZN2at6native12_GLOBAL__N_120adaptivemaxgradinputIdEEvPT_PKS3_PKliiiiiil,comdat
.Lfunc_end8:
	.size	_ZN2at6native12_GLOBAL__N_120adaptivemaxgradinputIdEEvPT_PKS3_PKliiiiiil, .Lfunc_end8-_ZN2at6native12_GLOBAL__N_120adaptivemaxgradinputIdEEvPT_PKS3_PKliiiiiil
                                        ; -- End function
	.section	.AMDGPU.csdata,"",@progbits
; Kernel info:
; codeLenInByte = 1176
; NumSgprs: 32
; NumVgprs: 16
; NumAgprs: 0
; TotalNumVgprs: 16
; ScratchSize: 0
; MemoryBound: 0
; FloatMode: 240
; IeeeMode: 1
; LDSByteSize: 0 bytes/workgroup (compile time only)
; SGPRBlocks: 3
; VGPRBlocks: 1
; NumSGPRsForWavesPerEU: 32
; NumVGPRsForWavesPerEU: 16
; AccumOffset: 16
; Occupancy: 8
; WaveLimiterHint : 1
; COMPUTE_PGM_RSRC2:SCRATCH_EN: 0
; COMPUTE_PGM_RSRC2:USER_SGPR: 6
; COMPUTE_PGM_RSRC2:TRAP_HANDLER: 0
; COMPUTE_PGM_RSRC2:TGID_X_EN: 1
; COMPUTE_PGM_RSRC2:TGID_Y_EN: 1
; COMPUTE_PGM_RSRC2:TGID_Z_EN: 0
; COMPUTE_PGM_RSRC2:TIDIG_COMP_CNT: 1
; COMPUTE_PGM_RSRC3_GFX90A:ACCUM_OFFSET: 3
; COMPUTE_PGM_RSRC3_GFX90A:TG_SPLIT: 0
	.section	.text._ZN2at6native12_GLOBAL__N_120adaptivemaxgradinputIfEEvPT_PKS3_PKliiiiiil,"axG",@progbits,_ZN2at6native12_GLOBAL__N_120adaptivemaxgradinputIfEEvPT_PKS3_PKliiiiiil,comdat
	.globl	_ZN2at6native12_GLOBAL__N_120adaptivemaxgradinputIfEEvPT_PKS3_PKliiiiiil ; -- Begin function _ZN2at6native12_GLOBAL__N_120adaptivemaxgradinputIfEEvPT_PKS3_PKliiiiiil
	.p2align	8
	.type	_ZN2at6native12_GLOBAL__N_120adaptivemaxgradinputIfEEvPT_PKS3_PKliiiiiil,@function
_ZN2at6native12_GLOBAL__N_120adaptivemaxgradinputIfEEvPT_PKS3_PKliiiiiil: ; @_ZN2at6native12_GLOBAL__N_120adaptivemaxgradinputIfEEvPT_PKS3_PKliiiiiil
; %bb.0:
	s_load_dwordx8 s[8:15], s[4:5], 0x18
	s_mov_b32 s0, 0
	s_waitcnt lgkmcnt(0)
	s_add_u32 s2, s6, s14
	s_addc_u32 s3, 0, s15
	s_ashr_i32 s15, s11, 31
	s_mov_b32 s14, s11
	s_or_b64 s[16:17], s[2:3], s[14:15]
	s_mov_b32 s1, s17
	s_cmp_lg_u64 s[0:1], 0
	s_cbranch_scc0 .LBB9_10
; %bb.1:
	s_add_u32 s0, s14, s15
	s_mov_b32 s16, s15
	s_mov_b32 s17, s15
	s_addc_u32 s1, s15, s15
	s_xor_b64 s[20:21], s[0:1], s[16:17]
	v_cvt_f32_u32_e32 v1, s20
	v_cvt_f32_u32_e32 v2, s21
	s_sub_u32 s0, 0, s20
	s_subb_u32 s1, 0, s21
	v_madmk_f32 v1, v2, 0x4f800000, v1
	v_rcp_f32_e32 v1, v1
	v_mul_f32_e32 v1, 0x5f7ffffc, v1
	v_mul_f32_e32 v2, 0x2f800000, v1
	v_trunc_f32_e32 v2, v2
	v_madmk_f32 v1, v2, 0xcf800000, v1
	v_cvt_u32_f32_e32 v2, v2
	v_cvt_u32_f32_e32 v1, v1
	v_readfirstlane_b32 s6, v2
	v_readfirstlane_b32 s11, v1
	s_mul_i32 s15, s0, s6
	s_mul_hi_u32 s23, s0, s11
	s_mul_i32 s22, s1, s11
	s_add_i32 s15, s23, s15
	s_add_i32 s15, s15, s22
	s_mul_i32 s24, s0, s11
	s_mul_hi_u32 s22, s11, s15
	s_mul_i32 s23, s11, s15
	s_mul_hi_u32 s11, s11, s24
	s_add_u32 s11, s11, s23
	s_addc_u32 s22, 0, s22
	s_mul_hi_u32 s25, s6, s24
	s_mul_i32 s24, s6, s24
	s_add_u32 s11, s11, s24
	s_mul_hi_u32 s23, s6, s15
	s_addc_u32 s11, s22, s25
	s_addc_u32 s22, s23, 0
	s_mul_i32 s15, s6, s15
	s_add_u32 s11, s11, s15
	s_addc_u32 s15, 0, s22
	v_add_co_u32_e32 v1, vcc, s11, v1
	s_cmp_lg_u64 vcc, 0
	s_addc_u32 s6, s6, s15
	v_readfirstlane_b32 s15, v1
	s_mul_i32 s11, s0, s6
	s_mul_hi_u32 s22, s0, s15
	s_add_i32 s11, s22, s11
	s_mul_i32 s1, s1, s15
	s_add_i32 s11, s11, s1
	s_mul_i32 s0, s0, s15
	s_mul_hi_u32 s22, s6, s0
	s_mul_i32 s23, s6, s0
	s_mul_i32 s25, s15, s11
	s_mul_hi_u32 s0, s15, s0
	s_mul_hi_u32 s24, s15, s11
	s_add_u32 s0, s0, s25
	s_addc_u32 s15, 0, s24
	s_add_u32 s0, s0, s23
	s_mul_hi_u32 s1, s6, s11
	s_addc_u32 s0, s15, s22
	s_addc_u32 s1, s1, 0
	s_mul_i32 s11, s6, s11
	s_add_u32 s0, s0, s11
	s_addc_u32 s1, 0, s1
	v_add_co_u32_e32 v1, vcc, s0, v1
	s_cmp_lg_u64 vcc, 0
	s_addc_u32 s6, s6, s1
	s_ashr_i32 s22, s3, 31
	s_add_u32 s0, s2, s22
	s_mov_b32 s23, s22
	s_addc_u32 s1, s3, s22
	s_xor_b64 s[24:25], s[0:1], s[22:23]
	v_readfirstlane_b32 s11, v1
	s_mul_i32 s1, s24, s6
	s_mul_hi_u32 s15, s24, s11
	s_mul_hi_u32 s0, s24, s6
	s_add_u32 s1, s15, s1
	s_addc_u32 s0, 0, s0
	s_mul_hi_u32 s26, s25, s11
	s_mul_i32 s11, s25, s11
	s_add_u32 s1, s1, s11
	s_mul_hi_u32 s15, s25, s6
	s_addc_u32 s0, s0, s26
	s_addc_u32 s1, s15, 0
	s_mul_i32 s6, s25, s6
	s_add_u32 s6, s0, s6
	s_addc_u32 s11, 0, s1
	s_mul_i32 s0, s20, s11
	s_mul_hi_u32 s1, s20, s6
	s_add_i32 s0, s1, s0
	s_mul_i32 s1, s21, s6
	s_add_i32 s15, s0, s1
	s_mul_i32 s1, s20, s6
	v_mov_b32_e32 v1, s1
	s_sub_i32 s0, s25, s15
	v_sub_co_u32_e32 v1, vcc, s24, v1
	s_cmp_lg_u64 vcc, 0
	s_subb_u32 s24, s0, s21
	v_subrev_co_u32_e64 v2, s[0:1], s20, v1
	s_cmp_lg_u64 s[0:1], 0
	s_subb_u32 s0, s24, 0
	s_cmp_ge_u32 s0, s21
	v_readfirstlane_b32 s24, v2
	s_cselect_b32 s1, -1, 0
	s_cmp_ge_u32 s24, s20
	s_cselect_b32 s24, -1, 0
	s_cmp_eq_u32 s0, s21
	s_cselect_b32 s0, s24, s1
	s_add_u32 s1, s6, 1
	s_addc_u32 s24, s11, 0
	s_add_u32 s26, s6, 2
	s_addc_u32 s27, s11, 0
	s_cmp_lg_u32 s0, 0
	s_cselect_b32 s0, s26, s1
	s_cselect_b32 s1, s27, s24
	s_cmp_lg_u64 vcc, 0
	s_subb_u32 s15, s25, s15
	s_cmp_ge_u32 s15, s21
	v_readfirstlane_b32 s25, v1
	s_cselect_b32 s24, -1, 0
	s_cmp_ge_u32 s25, s20
	s_cselect_b32 s20, -1, 0
	s_cmp_eq_u32 s15, s21
	s_cselect_b32 s15, s20, s24
	s_cmp_lg_u32 s15, 0
	s_cselect_b32 s1, s1, s11
	s_cselect_b32 s0, s0, s6
	s_xor_b64 s[16:17], s[22:23], s[16:17]
	s_xor_b64 s[0:1], s[0:1], s[16:17]
	s_sub_u32 s0, s0, s16
	s_load_dword s1, s[4:5], 0x44
	s_cbranch_execnz .LBB9_3
.LBB9_2:
	v_cvt_f32_u32_e32 v1, s14
	s_sub_i32 s0, 0, s14
	v_rcp_iflag_f32_e32 v1, v1
	v_mul_f32_e32 v1, 0x4f7ffffe, v1
	v_cvt_u32_f32_e32 v1, v1
	v_readfirstlane_b32 s6, v1
	s_mul_i32 s0, s0, s6
	s_mul_hi_u32 s0, s6, s0
	s_add_i32 s6, s6, s0
	s_mul_hi_u32 s0, s2, s6
	s_mul_i32 s11, s0, s14
	s_sub_i32 s11, s2, s11
	s_add_i32 s6, s0, 1
	s_sub_i32 s15, s11, s14
	s_cmp_ge_u32 s11, s14
	s_cselect_b32 s0, s6, s0
	s_cselect_b32 s11, s15, s11
	s_add_i32 s6, s0, 1
	s_cmp_ge_u32 s11, s14
	s_cselect_b32 s0, s6, s0
.LBB9_3:
	s_waitcnt lgkmcnt(0)
	s_lshr_b32 s6, s1, 16
	s_mul_i32 s7, s7, s6
	v_bfe_u32 v1, v0, 10, 10
	v_add_u32_e32 v8, s7, v1
	v_cmp_gt_i32_e32 vcc, s12, v8
	s_and_saveexec_b64 s[14:15], vcc
	s_cbranch_execz .LBB9_9
; %bb.4:
	s_load_dword s14, s[4:5], 0x3c
	s_load_dwordx4 s[16:19], s[4:5], 0x0
	s_load_dwordx2 s[20:21], s[4:5], 0x10
	s_mul_i32 s4, s9, s8
	s_mul_i32 s4, s4, s10
	;; [unrolled: 1-line block ×3, first 2 shown]
	s_ashr_i32 s5, s4, 31
	s_lshl_b64 s[4:5], s[4:5], 2
	s_waitcnt lgkmcnt(0)
	s_add_u32 s10, s16, s4
	s_addc_u32 s11, s17, s5
	s_ashr_i32 s4, s13, 31
	s_and_b32 s15, s1, 0xffff
	s_mul_hi_u32 s1, s2, s13
	s_mul_i32 s4, s2, s4
	s_ashr_i32 s0, s12, 31
	s_add_i32 s1, s1, s4
	s_mul_i32 s3, s3, s13
	s_mul_i32 s2, s2, s13
	s_add_i32 s1, s1, s3
	s_mul_i32 s0, s2, s0
	s_mul_hi_u32 s3, s2, s12
	s_add_i32 s0, s3, s0
	s_mul_i32 s1, s1, s12
	s_add_i32 s3, s0, s1
	s_mul_i32 s2, s2, s12
	s_lshl_b64 s[0:1], s[2:3], 2
	v_and_b32_e32 v9, 0x3ff, v0
	s_add_u32 s0, s18, s0
	v_lshlrev_b32_e32 v0, 2, v9
	s_addc_u32 s1, s19, s1
	v_mov_b32_e32 v1, s1
	v_add_co_u32_e64 v10, s[0:1], s0, v0
	v_addc_co_u32_e64 v11, s[0:1], 0, v1, s[0:1]
	s_lshl_b32 s18, s15, 2
	s_lshl_b64 s[0:1], s[2:3], 3
	s_add_u32 s0, s20, s0
	v_lshlrev_b32_e32 v1, 3, v9
	s_addc_u32 s1, s21, s1
	s_mul_i32 s14, s14, s6
	s_mov_b32 s16, 0
	v_mov_b32_e32 v2, s1
	v_add_co_u32_e64 v12, s[0:1], s0, v1
	v_cmp_gt_i32_e32 vcc, s13, v9
	v_mul_lo_u32 v0, s13, v8
	s_mul_i32 s17, s14, s13
	v_addc_co_u32_e64 v13, s[0:1], 0, v2, s[0:1]
	s_lshl_b32 s19, s15, 3
	s_mov_b32 s20, s16
	s_mov_b64 s[4:5], 0
	v_mov_b32_e32 v2, 0
	s_branch .LBB9_6
.LBB9_5:                                ;   in Loop: Header=BB9_6 Depth=1
	s_or_b64 exec, exec, s[6:7]
	v_add_u32_e32 v8, s14, v8
	v_cmp_le_i32_e64 s[0:1], s12, v8
	s_or_b64 s[4:5], s[0:1], s[4:5]
	v_add_u32_e32 v0, s17, v0
	s_andn2_b64 exec, exec, s[4:5]
	s_cbranch_execz .LBB9_9
.LBB9_6:                                ; =>This Loop Header: Depth=1
                                        ;     Child Loop BB9_8 Depth 2
	s_and_saveexec_b64 s[6:7], vcc
	s_cbranch_execz .LBB9_5
; %bb.7:                                ;   in Loop: Header=BB9_6 Depth=1
	v_ashrrev_i32_e32 v1, 31, v0
	v_lshlrev_b64 v[4:5], 2, v[0:1]
	v_add_co_u32_e64 v4, s[0:1], v10, v4
	v_addc_co_u32_e64 v5, s[0:1], v11, v5, s[0:1]
	v_lshlrev_b64 v[6:7], 3, v[0:1]
	v_add_co_u32_e64 v6, s[0:1], v12, v6
	v_addc_co_u32_e64 v7, s[0:1], v13, v7, s[0:1]
	s_mov_b64 s[8:9], 0
	v_mov_b32_e32 v1, v9
.LBB9_8:                                ;   Parent Loop BB9_6 Depth=1
                                        ; =>  This Inner Loop Header: Depth=2
	global_load_dword v3, v[6:7], off
	global_load_dword v16, v[4:5], off
	v_mov_b32_e32 v17, s11
	v_mov_b32_e32 v18, s20
	v_add_u32_e32 v1, s15, v1
	v_add_co_u32_e64 v4, s[2:3], s18, v4
	s_waitcnt vmcnt(1)
	v_ashrrev_i64 v[14:15], 30, v[2:3]
	v_add_co_u32_e64 v14, s[0:1], s10, v14
	v_addc_co_u32_e64 v15, s[0:1], v17, v15, s[0:1]
	global_load_dword v3, v[14:15], off
	v_add_co_u32_e64 v6, s[0:1], s19, v6
	v_addc_co_u32_e64 v7, s[0:1], v7, v18, s[0:1]
	v_mov_b32_e32 v17, s16
	v_cmp_le_i32_e64 s[0:1], s13, v1
	v_addc_co_u32_e64 v5, s[2:3], v5, v17, s[2:3]
	s_or_b64 s[8:9], s[0:1], s[8:9]
	s_waitcnt vmcnt(0)
	v_add_f32_e32 v3, v16, v3
	global_store_dword v[14:15], v3, off
	s_andn2_b64 exec, exec, s[8:9]
	s_cbranch_execnz .LBB9_8
	s_branch .LBB9_5
.LBB9_9:
	s_endpgm
.LBB9_10:
                                        ; implicit-def: $sgpr0_sgpr1
	s_load_dword s1, s[4:5], 0x44
	s_branch .LBB9_2
	.section	.rodata,"a",@progbits
	.p2align	6, 0x0
	.amdhsa_kernel _ZN2at6native12_GLOBAL__N_120adaptivemaxgradinputIfEEvPT_PKS3_PKliiiiiil
		.amdhsa_group_segment_fixed_size 0
		.amdhsa_private_segment_fixed_size 0
		.amdhsa_kernarg_size 312
		.amdhsa_user_sgpr_count 6
		.amdhsa_user_sgpr_private_segment_buffer 1
		.amdhsa_user_sgpr_dispatch_ptr 0
		.amdhsa_user_sgpr_queue_ptr 0
		.amdhsa_user_sgpr_kernarg_segment_ptr 1
		.amdhsa_user_sgpr_dispatch_id 0
		.amdhsa_user_sgpr_flat_scratch_init 0
		.amdhsa_user_sgpr_kernarg_preload_length 0
		.amdhsa_user_sgpr_kernarg_preload_offset 0
		.amdhsa_user_sgpr_private_segment_size 0
		.amdhsa_uses_dynamic_stack 0
		.amdhsa_system_sgpr_private_segment_wavefront_offset 0
		.amdhsa_system_sgpr_workgroup_id_x 1
		.amdhsa_system_sgpr_workgroup_id_y 1
		.amdhsa_system_sgpr_workgroup_id_z 0
		.amdhsa_system_sgpr_workgroup_info 0
		.amdhsa_system_vgpr_workitem_id 1
		.amdhsa_next_free_vgpr 19
		.amdhsa_next_free_sgpr 28
		.amdhsa_accum_offset 20
		.amdhsa_reserve_vcc 1
		.amdhsa_reserve_flat_scratch 0
		.amdhsa_float_round_mode_32 0
		.amdhsa_float_round_mode_16_64 0
		.amdhsa_float_denorm_mode_32 3
		.amdhsa_float_denorm_mode_16_64 3
		.amdhsa_dx10_clamp 1
		.amdhsa_ieee_mode 1
		.amdhsa_fp16_overflow 0
		.amdhsa_tg_split 0
		.amdhsa_exception_fp_ieee_invalid_op 0
		.amdhsa_exception_fp_denorm_src 0
		.amdhsa_exception_fp_ieee_div_zero 0
		.amdhsa_exception_fp_ieee_overflow 0
		.amdhsa_exception_fp_ieee_underflow 0
		.amdhsa_exception_fp_ieee_inexact 0
		.amdhsa_exception_int_div_zero 0
	.end_amdhsa_kernel
	.section	.text._ZN2at6native12_GLOBAL__N_120adaptivemaxgradinputIfEEvPT_PKS3_PKliiiiiil,"axG",@progbits,_ZN2at6native12_GLOBAL__N_120adaptivemaxgradinputIfEEvPT_PKS3_PKliiiiiil,comdat
.Lfunc_end9:
	.size	_ZN2at6native12_GLOBAL__N_120adaptivemaxgradinputIfEEvPT_PKS3_PKliiiiiil, .Lfunc_end9-_ZN2at6native12_GLOBAL__N_120adaptivemaxgradinputIfEEvPT_PKS3_PKliiiiiil
                                        ; -- End function
	.section	.AMDGPU.csdata,"",@progbits
; Kernel info:
; codeLenInByte = 1228
; NumSgprs: 32
; NumVgprs: 19
; NumAgprs: 0
; TotalNumVgprs: 19
; ScratchSize: 0
; MemoryBound: 0
; FloatMode: 240
; IeeeMode: 1
; LDSByteSize: 0 bytes/workgroup (compile time only)
; SGPRBlocks: 3
; VGPRBlocks: 2
; NumSGPRsForWavesPerEU: 32
; NumVGPRsForWavesPerEU: 19
; AccumOffset: 20
; Occupancy: 8
; WaveLimiterHint : 1
; COMPUTE_PGM_RSRC2:SCRATCH_EN: 0
; COMPUTE_PGM_RSRC2:USER_SGPR: 6
; COMPUTE_PGM_RSRC2:TRAP_HANDLER: 0
; COMPUTE_PGM_RSRC2:TGID_X_EN: 1
; COMPUTE_PGM_RSRC2:TGID_Y_EN: 1
; COMPUTE_PGM_RSRC2:TGID_Z_EN: 0
; COMPUTE_PGM_RSRC2:TIDIG_COMP_CNT: 1
; COMPUTE_PGM_RSRC3_GFX90A:ACCUM_OFFSET: 4
; COMPUTE_PGM_RSRC3_GFX90A:TG_SPLIT: 0
	.section	.text._ZN2at6native12_GLOBAL__N_120adaptivemaxgradinputIN3c104HalfEEEvPT_PKS5_PKliiiiiil,"axG",@progbits,_ZN2at6native12_GLOBAL__N_120adaptivemaxgradinputIN3c104HalfEEEvPT_PKS5_PKliiiiiil,comdat
	.globl	_ZN2at6native12_GLOBAL__N_120adaptivemaxgradinputIN3c104HalfEEEvPT_PKS5_PKliiiiiil ; -- Begin function _ZN2at6native12_GLOBAL__N_120adaptivemaxgradinputIN3c104HalfEEEvPT_PKS5_PKliiiiiil
	.p2align	8
	.type	_ZN2at6native12_GLOBAL__N_120adaptivemaxgradinputIN3c104HalfEEEvPT_PKS5_PKliiiiiil,@function
_ZN2at6native12_GLOBAL__N_120adaptivemaxgradinputIN3c104HalfEEEvPT_PKS5_PKliiiiiil: ; @_ZN2at6native12_GLOBAL__N_120adaptivemaxgradinputIN3c104HalfEEEvPT_PKS5_PKliiiiiil
; %bb.0:
	s_load_dwordx8 s[8:15], s[4:5], 0x18
	s_mov_b32 s0, 0
	s_waitcnt lgkmcnt(0)
	s_add_u32 s2, s6, s14
	s_addc_u32 s3, 0, s15
	s_ashr_i32 s15, s11, 31
	s_mov_b32 s14, s11
	s_or_b64 s[16:17], s[2:3], s[14:15]
	s_mov_b32 s1, s17
	s_cmp_lg_u64 s[0:1], 0
	s_cbranch_scc0 .LBB10_10
; %bb.1:
	s_add_u32 s0, s14, s15
	s_mov_b32 s16, s15
	s_mov_b32 s17, s15
	s_addc_u32 s1, s15, s15
	s_xor_b64 s[20:21], s[0:1], s[16:17]
	v_cvt_f32_u32_e32 v1, s20
	v_cvt_f32_u32_e32 v2, s21
	s_sub_u32 s0, 0, s20
	s_subb_u32 s1, 0, s21
	v_madmk_f32 v1, v2, 0x4f800000, v1
	v_rcp_f32_e32 v1, v1
	v_mul_f32_e32 v1, 0x5f7ffffc, v1
	v_mul_f32_e32 v2, 0x2f800000, v1
	v_trunc_f32_e32 v2, v2
	v_madmk_f32 v1, v2, 0xcf800000, v1
	v_cvt_u32_f32_e32 v2, v2
	v_cvt_u32_f32_e32 v1, v1
	v_readfirstlane_b32 s6, v2
	v_readfirstlane_b32 s11, v1
	s_mul_i32 s15, s0, s6
	s_mul_hi_u32 s23, s0, s11
	s_mul_i32 s22, s1, s11
	s_add_i32 s15, s23, s15
	s_add_i32 s15, s15, s22
	s_mul_i32 s24, s0, s11
	s_mul_hi_u32 s22, s11, s15
	s_mul_i32 s23, s11, s15
	s_mul_hi_u32 s11, s11, s24
	s_add_u32 s11, s11, s23
	s_addc_u32 s22, 0, s22
	s_mul_hi_u32 s25, s6, s24
	s_mul_i32 s24, s6, s24
	s_add_u32 s11, s11, s24
	s_mul_hi_u32 s23, s6, s15
	s_addc_u32 s11, s22, s25
	s_addc_u32 s22, s23, 0
	s_mul_i32 s15, s6, s15
	s_add_u32 s11, s11, s15
	s_addc_u32 s15, 0, s22
	v_add_co_u32_e32 v1, vcc, s11, v1
	s_cmp_lg_u64 vcc, 0
	s_addc_u32 s6, s6, s15
	v_readfirstlane_b32 s15, v1
	s_mul_i32 s11, s0, s6
	s_mul_hi_u32 s22, s0, s15
	s_add_i32 s11, s22, s11
	s_mul_i32 s1, s1, s15
	s_add_i32 s11, s11, s1
	s_mul_i32 s0, s0, s15
	s_mul_hi_u32 s22, s6, s0
	s_mul_i32 s23, s6, s0
	s_mul_i32 s25, s15, s11
	s_mul_hi_u32 s0, s15, s0
	s_mul_hi_u32 s24, s15, s11
	s_add_u32 s0, s0, s25
	s_addc_u32 s15, 0, s24
	s_add_u32 s0, s0, s23
	s_mul_hi_u32 s1, s6, s11
	s_addc_u32 s0, s15, s22
	s_addc_u32 s1, s1, 0
	s_mul_i32 s11, s6, s11
	s_add_u32 s0, s0, s11
	s_addc_u32 s1, 0, s1
	v_add_co_u32_e32 v1, vcc, s0, v1
	s_cmp_lg_u64 vcc, 0
	s_addc_u32 s6, s6, s1
	s_ashr_i32 s22, s3, 31
	s_add_u32 s0, s2, s22
	s_mov_b32 s23, s22
	s_addc_u32 s1, s3, s22
	s_xor_b64 s[24:25], s[0:1], s[22:23]
	v_readfirstlane_b32 s11, v1
	s_mul_i32 s1, s24, s6
	s_mul_hi_u32 s15, s24, s11
	s_mul_hi_u32 s0, s24, s6
	s_add_u32 s1, s15, s1
	s_addc_u32 s0, 0, s0
	s_mul_hi_u32 s26, s25, s11
	s_mul_i32 s11, s25, s11
	s_add_u32 s1, s1, s11
	s_mul_hi_u32 s15, s25, s6
	s_addc_u32 s0, s0, s26
	s_addc_u32 s1, s15, 0
	s_mul_i32 s6, s25, s6
	s_add_u32 s6, s0, s6
	s_addc_u32 s11, 0, s1
	s_mul_i32 s0, s20, s11
	s_mul_hi_u32 s1, s20, s6
	s_add_i32 s0, s1, s0
	s_mul_i32 s1, s21, s6
	s_add_i32 s15, s0, s1
	s_mul_i32 s1, s20, s6
	v_mov_b32_e32 v1, s1
	s_sub_i32 s0, s25, s15
	v_sub_co_u32_e32 v1, vcc, s24, v1
	s_cmp_lg_u64 vcc, 0
	s_subb_u32 s24, s0, s21
	v_subrev_co_u32_e64 v2, s[0:1], s20, v1
	s_cmp_lg_u64 s[0:1], 0
	s_subb_u32 s0, s24, 0
	s_cmp_ge_u32 s0, s21
	v_readfirstlane_b32 s24, v2
	s_cselect_b32 s1, -1, 0
	s_cmp_ge_u32 s24, s20
	s_cselect_b32 s24, -1, 0
	s_cmp_eq_u32 s0, s21
	s_cselect_b32 s0, s24, s1
	s_add_u32 s1, s6, 1
	s_addc_u32 s24, s11, 0
	s_add_u32 s26, s6, 2
	s_addc_u32 s27, s11, 0
	s_cmp_lg_u32 s0, 0
	s_cselect_b32 s0, s26, s1
	s_cselect_b32 s1, s27, s24
	s_cmp_lg_u64 vcc, 0
	s_subb_u32 s15, s25, s15
	s_cmp_ge_u32 s15, s21
	v_readfirstlane_b32 s25, v1
	s_cselect_b32 s24, -1, 0
	s_cmp_ge_u32 s25, s20
	s_cselect_b32 s20, -1, 0
	s_cmp_eq_u32 s15, s21
	s_cselect_b32 s15, s20, s24
	s_cmp_lg_u32 s15, 0
	s_cselect_b32 s1, s1, s11
	s_cselect_b32 s0, s0, s6
	s_xor_b64 s[16:17], s[22:23], s[16:17]
	s_xor_b64 s[0:1], s[0:1], s[16:17]
	s_sub_u32 s0, s0, s16
	s_load_dword s1, s[4:5], 0x44
	s_cbranch_execnz .LBB10_3
.LBB10_2:
	v_cvt_f32_u32_e32 v1, s14
	s_sub_i32 s0, 0, s14
	v_rcp_iflag_f32_e32 v1, v1
	v_mul_f32_e32 v1, 0x4f7ffffe, v1
	v_cvt_u32_f32_e32 v1, v1
	v_readfirstlane_b32 s6, v1
	s_mul_i32 s0, s0, s6
	s_mul_hi_u32 s0, s6, s0
	s_add_i32 s6, s6, s0
	s_mul_hi_u32 s0, s2, s6
	s_mul_i32 s11, s0, s14
	s_sub_i32 s11, s2, s11
	s_add_i32 s6, s0, 1
	s_sub_i32 s15, s11, s14
	s_cmp_ge_u32 s11, s14
	s_cselect_b32 s0, s6, s0
	s_cselect_b32 s11, s15, s11
	s_add_i32 s6, s0, 1
	s_cmp_ge_u32 s11, s14
	s_cselect_b32 s0, s6, s0
.LBB10_3:
	s_waitcnt lgkmcnt(0)
	s_lshr_b32 s6, s1, 16
	s_mul_i32 s7, s7, s6
	v_bfe_u32 v1, v0, 10, 10
	v_add_u32_e32 v8, s7, v1
	v_cmp_gt_i32_e32 vcc, s12, v8
	s_and_saveexec_b64 s[14:15], vcc
	s_cbranch_execz .LBB10_9
; %bb.4:
	s_load_dword s14, s[4:5], 0x3c
	s_load_dwordx4 s[16:19], s[4:5], 0x0
	s_load_dwordx2 s[20:21], s[4:5], 0x10
	s_mul_i32 s4, s9, s8
	s_mul_i32 s4, s4, s10
	;; [unrolled: 1-line block ×3, first 2 shown]
	s_ashr_i32 s5, s4, 31
	s_lshl_b64 s[4:5], s[4:5], 1
	s_waitcnt lgkmcnt(0)
	s_add_u32 s10, s16, s4
	s_addc_u32 s11, s17, s5
	s_ashr_i32 s4, s13, 31
	s_and_b32 s15, s1, 0xffff
	s_mul_hi_u32 s1, s2, s13
	s_mul_i32 s4, s2, s4
	s_ashr_i32 s0, s12, 31
	s_add_i32 s1, s1, s4
	s_mul_i32 s3, s3, s13
	s_mul_i32 s2, s2, s13
	s_add_i32 s1, s1, s3
	s_mul_i32 s0, s2, s0
	s_mul_hi_u32 s3, s2, s12
	s_add_i32 s0, s3, s0
	s_mul_i32 s1, s1, s12
	s_add_i32 s3, s0, s1
	s_mul_i32 s2, s2, s12
	s_lshl_b64 s[0:1], s[2:3], 1
	v_and_b32_e32 v9, 0x3ff, v0
	s_add_u32 s0, s18, s0
	v_lshlrev_b32_e32 v0, 1, v9
	s_addc_u32 s1, s19, s1
	v_mov_b32_e32 v1, s1
	v_add_co_u32_e64 v10, s[0:1], s0, v0
	v_addc_co_u32_e64 v11, s[0:1], 0, v1, s[0:1]
	s_lshl_b32 s18, s15, 1
	s_lshl_b64 s[0:1], s[2:3], 3
	s_add_u32 s0, s20, s0
	v_lshlrev_b32_e32 v1, 3, v9
	s_addc_u32 s1, s21, s1
	s_mul_i32 s14, s14, s6
	s_mov_b32 s16, 0
	v_mov_b32_e32 v2, s1
	v_add_co_u32_e64 v12, s[0:1], s0, v1
	v_cmp_gt_i32_e32 vcc, s13, v9
	v_mul_lo_u32 v0, s13, v8
	s_mul_i32 s17, s14, s13
	v_addc_co_u32_e64 v13, s[0:1], 0, v2, s[0:1]
	s_lshl_b32 s19, s15, 3
	s_mov_b32 s20, s16
	s_mov_b64 s[4:5], 0
	v_mov_b32_e32 v2, 0
	s_branch .LBB10_6
.LBB10_5:                               ;   in Loop: Header=BB10_6 Depth=1
	s_or_b64 exec, exec, s[6:7]
	v_add_u32_e32 v8, s14, v8
	v_cmp_le_i32_e64 s[0:1], s12, v8
	s_or_b64 s[4:5], s[0:1], s[4:5]
	v_add_u32_e32 v0, s17, v0
	s_andn2_b64 exec, exec, s[4:5]
	s_cbranch_execz .LBB10_9
.LBB10_6:                               ; =>This Loop Header: Depth=1
                                        ;     Child Loop BB10_8 Depth 2
	s_and_saveexec_b64 s[6:7], vcc
	s_cbranch_execz .LBB10_5
; %bb.7:                                ;   in Loop: Header=BB10_6 Depth=1
	v_ashrrev_i32_e32 v1, 31, v0
	v_lshlrev_b64 v[4:5], 1, v[0:1]
	v_add_co_u32_e64 v4, s[0:1], v10, v4
	v_addc_co_u32_e64 v5, s[0:1], v11, v5, s[0:1]
	v_lshlrev_b64 v[6:7], 3, v[0:1]
	v_add_co_u32_e64 v6, s[0:1], v12, v6
	v_addc_co_u32_e64 v7, s[0:1], v13, v7, s[0:1]
	s_mov_b64 s[8:9], 0
	v_mov_b32_e32 v1, v9
.LBB10_8:                               ;   Parent Loop BB10_6 Depth=1
                                        ; =>  This Inner Loop Header: Depth=2
	global_load_dword v3, v[6:7], off
	global_load_ushort v16, v[4:5], off
	v_mov_b32_e32 v17, s11
	v_mov_b32_e32 v18, s20
	v_add_u32_e32 v1, s15, v1
	v_add_co_u32_e64 v4, s[2:3], s18, v4
	s_waitcnt vmcnt(1)
	v_ashrrev_i64 v[14:15], 31, v[2:3]
	v_add_co_u32_e64 v14, s[0:1], s10, v14
	v_addc_co_u32_e64 v15, s[0:1], v17, v15, s[0:1]
	global_load_ushort v3, v[14:15], off
	v_add_co_u32_e64 v6, s[0:1], s19, v6
	v_addc_co_u32_e64 v7, s[0:1], v7, v18, s[0:1]
	v_mov_b32_e32 v17, s16
	v_cmp_le_i32_e64 s[0:1], s13, v1
	v_addc_co_u32_e64 v5, s[2:3], v5, v17, s[2:3]
	s_or_b64 s[8:9], s[0:1], s[8:9]
	s_waitcnt vmcnt(0)
	v_add_f16_e32 v3, v16, v3
	global_store_short v[14:15], v3, off
	s_andn2_b64 exec, exec, s[8:9]
	s_cbranch_execnz .LBB10_8
	s_branch .LBB10_5
.LBB10_9:
	s_endpgm
.LBB10_10:
                                        ; implicit-def: $sgpr0_sgpr1
	s_load_dword s1, s[4:5], 0x44
	s_branch .LBB10_2
	.section	.rodata,"a",@progbits
	.p2align	6, 0x0
	.amdhsa_kernel _ZN2at6native12_GLOBAL__N_120adaptivemaxgradinputIN3c104HalfEEEvPT_PKS5_PKliiiiiil
		.amdhsa_group_segment_fixed_size 0
		.amdhsa_private_segment_fixed_size 0
		.amdhsa_kernarg_size 312
		.amdhsa_user_sgpr_count 6
		.amdhsa_user_sgpr_private_segment_buffer 1
		.amdhsa_user_sgpr_dispatch_ptr 0
		.amdhsa_user_sgpr_queue_ptr 0
		.amdhsa_user_sgpr_kernarg_segment_ptr 1
		.amdhsa_user_sgpr_dispatch_id 0
		.amdhsa_user_sgpr_flat_scratch_init 0
		.amdhsa_user_sgpr_kernarg_preload_length 0
		.amdhsa_user_sgpr_kernarg_preload_offset 0
		.amdhsa_user_sgpr_private_segment_size 0
		.amdhsa_uses_dynamic_stack 0
		.amdhsa_system_sgpr_private_segment_wavefront_offset 0
		.amdhsa_system_sgpr_workgroup_id_x 1
		.amdhsa_system_sgpr_workgroup_id_y 1
		.amdhsa_system_sgpr_workgroup_id_z 0
		.amdhsa_system_sgpr_workgroup_info 0
		.amdhsa_system_vgpr_workitem_id 1
		.amdhsa_next_free_vgpr 19
		.amdhsa_next_free_sgpr 28
		.amdhsa_accum_offset 20
		.amdhsa_reserve_vcc 1
		.amdhsa_reserve_flat_scratch 0
		.amdhsa_float_round_mode_32 0
		.amdhsa_float_round_mode_16_64 0
		.amdhsa_float_denorm_mode_32 3
		.amdhsa_float_denorm_mode_16_64 3
		.amdhsa_dx10_clamp 1
		.amdhsa_ieee_mode 1
		.amdhsa_fp16_overflow 0
		.amdhsa_tg_split 0
		.amdhsa_exception_fp_ieee_invalid_op 0
		.amdhsa_exception_fp_denorm_src 0
		.amdhsa_exception_fp_ieee_div_zero 0
		.amdhsa_exception_fp_ieee_overflow 0
		.amdhsa_exception_fp_ieee_underflow 0
		.amdhsa_exception_fp_ieee_inexact 0
		.amdhsa_exception_int_div_zero 0
	.end_amdhsa_kernel
	.section	.text._ZN2at6native12_GLOBAL__N_120adaptivemaxgradinputIN3c104HalfEEEvPT_PKS5_PKliiiiiil,"axG",@progbits,_ZN2at6native12_GLOBAL__N_120adaptivemaxgradinputIN3c104HalfEEEvPT_PKS5_PKliiiiiil,comdat
.Lfunc_end10:
	.size	_ZN2at6native12_GLOBAL__N_120adaptivemaxgradinputIN3c104HalfEEEvPT_PKS5_PKliiiiiil, .Lfunc_end10-_ZN2at6native12_GLOBAL__N_120adaptivemaxgradinputIN3c104HalfEEEvPT_PKS5_PKliiiiiil
                                        ; -- End function
	.section	.AMDGPU.csdata,"",@progbits
; Kernel info:
; codeLenInByte = 1228
; NumSgprs: 32
; NumVgprs: 19
; NumAgprs: 0
; TotalNumVgprs: 19
; ScratchSize: 0
; MemoryBound: 0
; FloatMode: 240
; IeeeMode: 1
; LDSByteSize: 0 bytes/workgroup (compile time only)
; SGPRBlocks: 3
; VGPRBlocks: 2
; NumSGPRsForWavesPerEU: 32
; NumVGPRsForWavesPerEU: 19
; AccumOffset: 20
; Occupancy: 8
; WaveLimiterHint : 1
; COMPUTE_PGM_RSRC2:SCRATCH_EN: 0
; COMPUTE_PGM_RSRC2:USER_SGPR: 6
; COMPUTE_PGM_RSRC2:TRAP_HANDLER: 0
; COMPUTE_PGM_RSRC2:TGID_X_EN: 1
; COMPUTE_PGM_RSRC2:TGID_Y_EN: 1
; COMPUTE_PGM_RSRC2:TGID_Z_EN: 0
; COMPUTE_PGM_RSRC2:TIDIG_COMP_CNT: 1
; COMPUTE_PGM_RSRC3_GFX90A:ACCUM_OFFSET: 4
; COMPUTE_PGM_RSRC3_GFX90A:TG_SPLIT: 0
	.section	.text._ZN2at6native12_GLOBAL__N_120adaptivemaxgradinputIN3c108BFloat16EEEvPT_PKS5_PKliiiiiil,"axG",@progbits,_ZN2at6native12_GLOBAL__N_120adaptivemaxgradinputIN3c108BFloat16EEEvPT_PKS5_PKliiiiiil,comdat
	.globl	_ZN2at6native12_GLOBAL__N_120adaptivemaxgradinputIN3c108BFloat16EEEvPT_PKS5_PKliiiiiil ; -- Begin function _ZN2at6native12_GLOBAL__N_120adaptivemaxgradinputIN3c108BFloat16EEEvPT_PKS5_PKliiiiiil
	.p2align	8
	.type	_ZN2at6native12_GLOBAL__N_120adaptivemaxgradinputIN3c108BFloat16EEEvPT_PKS5_PKliiiiiil,@function
_ZN2at6native12_GLOBAL__N_120adaptivemaxgradinputIN3c108BFloat16EEEvPT_PKS5_PKliiiiiil: ; @_ZN2at6native12_GLOBAL__N_120adaptivemaxgradinputIN3c108BFloat16EEEvPT_PKS5_PKliiiiiil
; %bb.0:
	s_load_dwordx8 s[8:15], s[4:5], 0x18
	s_mov_b32 s0, 0
	s_waitcnt lgkmcnt(0)
	s_add_u32 s2, s6, s14
	s_addc_u32 s3, 0, s15
	s_ashr_i32 s15, s11, 31
	s_mov_b32 s14, s11
	s_or_b64 s[16:17], s[2:3], s[14:15]
	s_mov_b32 s1, s17
	s_cmp_lg_u64 s[0:1], 0
	s_cbranch_scc0 .LBB11_10
; %bb.1:
	s_add_u32 s0, s14, s15
	s_mov_b32 s16, s15
	s_mov_b32 s17, s15
	s_addc_u32 s1, s15, s15
	s_xor_b64 s[20:21], s[0:1], s[16:17]
	v_cvt_f32_u32_e32 v1, s20
	v_cvt_f32_u32_e32 v2, s21
	s_sub_u32 s0, 0, s20
	s_subb_u32 s1, 0, s21
	v_madmk_f32 v1, v2, 0x4f800000, v1
	v_rcp_f32_e32 v1, v1
	v_mul_f32_e32 v1, 0x5f7ffffc, v1
	v_mul_f32_e32 v2, 0x2f800000, v1
	v_trunc_f32_e32 v2, v2
	v_madmk_f32 v1, v2, 0xcf800000, v1
	v_cvt_u32_f32_e32 v2, v2
	v_cvt_u32_f32_e32 v1, v1
	v_readfirstlane_b32 s6, v2
	v_readfirstlane_b32 s11, v1
	s_mul_i32 s15, s0, s6
	s_mul_hi_u32 s23, s0, s11
	s_mul_i32 s22, s1, s11
	s_add_i32 s15, s23, s15
	s_add_i32 s15, s15, s22
	s_mul_i32 s24, s0, s11
	s_mul_hi_u32 s22, s11, s15
	s_mul_i32 s23, s11, s15
	s_mul_hi_u32 s11, s11, s24
	s_add_u32 s11, s11, s23
	s_addc_u32 s22, 0, s22
	s_mul_hi_u32 s25, s6, s24
	s_mul_i32 s24, s6, s24
	s_add_u32 s11, s11, s24
	s_mul_hi_u32 s23, s6, s15
	s_addc_u32 s11, s22, s25
	s_addc_u32 s22, s23, 0
	s_mul_i32 s15, s6, s15
	s_add_u32 s11, s11, s15
	s_addc_u32 s15, 0, s22
	v_add_co_u32_e32 v1, vcc, s11, v1
	s_cmp_lg_u64 vcc, 0
	s_addc_u32 s6, s6, s15
	v_readfirstlane_b32 s15, v1
	s_mul_i32 s11, s0, s6
	s_mul_hi_u32 s22, s0, s15
	s_add_i32 s11, s22, s11
	s_mul_i32 s1, s1, s15
	s_add_i32 s11, s11, s1
	s_mul_i32 s0, s0, s15
	s_mul_hi_u32 s22, s6, s0
	s_mul_i32 s23, s6, s0
	s_mul_i32 s25, s15, s11
	s_mul_hi_u32 s0, s15, s0
	s_mul_hi_u32 s24, s15, s11
	s_add_u32 s0, s0, s25
	s_addc_u32 s15, 0, s24
	s_add_u32 s0, s0, s23
	s_mul_hi_u32 s1, s6, s11
	s_addc_u32 s0, s15, s22
	s_addc_u32 s1, s1, 0
	s_mul_i32 s11, s6, s11
	s_add_u32 s0, s0, s11
	s_addc_u32 s1, 0, s1
	v_add_co_u32_e32 v1, vcc, s0, v1
	s_cmp_lg_u64 vcc, 0
	s_addc_u32 s6, s6, s1
	s_ashr_i32 s22, s3, 31
	s_add_u32 s0, s2, s22
	s_mov_b32 s23, s22
	s_addc_u32 s1, s3, s22
	s_xor_b64 s[24:25], s[0:1], s[22:23]
	v_readfirstlane_b32 s11, v1
	s_mul_i32 s1, s24, s6
	s_mul_hi_u32 s15, s24, s11
	s_mul_hi_u32 s0, s24, s6
	s_add_u32 s1, s15, s1
	s_addc_u32 s0, 0, s0
	s_mul_hi_u32 s26, s25, s11
	s_mul_i32 s11, s25, s11
	s_add_u32 s1, s1, s11
	s_mul_hi_u32 s15, s25, s6
	s_addc_u32 s0, s0, s26
	s_addc_u32 s1, s15, 0
	s_mul_i32 s6, s25, s6
	s_add_u32 s6, s0, s6
	s_addc_u32 s11, 0, s1
	s_mul_i32 s0, s20, s11
	s_mul_hi_u32 s1, s20, s6
	s_add_i32 s0, s1, s0
	s_mul_i32 s1, s21, s6
	s_add_i32 s15, s0, s1
	s_mul_i32 s1, s20, s6
	v_mov_b32_e32 v1, s1
	s_sub_i32 s0, s25, s15
	v_sub_co_u32_e32 v1, vcc, s24, v1
	s_cmp_lg_u64 vcc, 0
	s_subb_u32 s24, s0, s21
	v_subrev_co_u32_e64 v2, s[0:1], s20, v1
	s_cmp_lg_u64 s[0:1], 0
	s_subb_u32 s0, s24, 0
	s_cmp_ge_u32 s0, s21
	v_readfirstlane_b32 s24, v2
	s_cselect_b32 s1, -1, 0
	s_cmp_ge_u32 s24, s20
	s_cselect_b32 s24, -1, 0
	s_cmp_eq_u32 s0, s21
	s_cselect_b32 s0, s24, s1
	s_add_u32 s1, s6, 1
	s_addc_u32 s24, s11, 0
	s_add_u32 s26, s6, 2
	s_addc_u32 s27, s11, 0
	s_cmp_lg_u32 s0, 0
	s_cselect_b32 s0, s26, s1
	s_cselect_b32 s1, s27, s24
	s_cmp_lg_u64 vcc, 0
	s_subb_u32 s15, s25, s15
	s_cmp_ge_u32 s15, s21
	v_readfirstlane_b32 s25, v1
	s_cselect_b32 s24, -1, 0
	s_cmp_ge_u32 s25, s20
	s_cselect_b32 s20, -1, 0
	s_cmp_eq_u32 s15, s21
	s_cselect_b32 s15, s20, s24
	s_cmp_lg_u32 s15, 0
	s_cselect_b32 s1, s1, s11
	s_cselect_b32 s0, s0, s6
	s_xor_b64 s[16:17], s[22:23], s[16:17]
	s_xor_b64 s[0:1], s[0:1], s[16:17]
	s_sub_u32 s0, s0, s16
	s_load_dword s1, s[4:5], 0x44
	s_cbranch_execnz .LBB11_3
.LBB11_2:
	v_cvt_f32_u32_e32 v1, s14
	s_sub_i32 s0, 0, s14
	v_rcp_iflag_f32_e32 v1, v1
	v_mul_f32_e32 v1, 0x4f7ffffe, v1
	v_cvt_u32_f32_e32 v1, v1
	v_readfirstlane_b32 s6, v1
	s_mul_i32 s0, s0, s6
	s_mul_hi_u32 s0, s6, s0
	s_add_i32 s6, s6, s0
	s_mul_hi_u32 s0, s2, s6
	s_mul_i32 s11, s0, s14
	s_sub_i32 s11, s2, s11
	s_add_i32 s6, s0, 1
	s_sub_i32 s15, s11, s14
	s_cmp_ge_u32 s11, s14
	s_cselect_b32 s0, s6, s0
	s_cselect_b32 s11, s15, s11
	s_add_i32 s6, s0, 1
	s_cmp_ge_u32 s11, s14
	s_cselect_b32 s0, s6, s0
.LBB11_3:
	s_waitcnt lgkmcnt(0)
	s_lshr_b32 s6, s1, 16
	s_mul_i32 s7, s7, s6
	v_bfe_u32 v1, v0, 10, 10
	v_add_u32_e32 v8, s7, v1
	v_cmp_gt_i32_e32 vcc, s12, v8
	s_and_saveexec_b64 s[14:15], vcc
	s_cbranch_execz .LBB11_9
; %bb.4:
	s_load_dword s14, s[4:5], 0x3c
	s_load_dwordx4 s[16:19], s[4:5], 0x0
	s_load_dwordx2 s[20:21], s[4:5], 0x10
	s_mul_i32 s4, s9, s8
	s_mul_i32 s4, s4, s10
	;; [unrolled: 1-line block ×3, first 2 shown]
	s_ashr_i32 s5, s4, 31
	s_lshl_b64 s[4:5], s[4:5], 1
	s_waitcnt lgkmcnt(0)
	s_add_u32 s10, s16, s4
	s_addc_u32 s11, s17, s5
	s_ashr_i32 s4, s13, 31
	s_and_b32 s15, s1, 0xffff
	s_mul_hi_u32 s1, s2, s13
	s_mul_i32 s4, s2, s4
	s_ashr_i32 s0, s12, 31
	s_add_i32 s1, s1, s4
	s_mul_i32 s3, s3, s13
	s_mul_i32 s2, s2, s13
	s_add_i32 s1, s1, s3
	s_mul_i32 s0, s2, s0
	s_mul_hi_u32 s3, s2, s12
	s_add_i32 s0, s3, s0
	s_mul_i32 s1, s1, s12
	s_add_i32 s3, s0, s1
	s_mul_i32 s2, s2, s12
	s_lshl_b64 s[0:1], s[2:3], 1
	v_and_b32_e32 v9, 0x3ff, v0
	s_add_u32 s0, s18, s0
	v_lshlrev_b32_e32 v0, 1, v9
	s_addc_u32 s1, s19, s1
	v_mov_b32_e32 v1, s1
	v_add_co_u32_e64 v10, s[0:1], s0, v0
	v_addc_co_u32_e64 v11, s[0:1], 0, v1, s[0:1]
	s_lshl_b32 s18, s15, 1
	s_lshl_b64 s[0:1], s[2:3], 3
	s_add_u32 s0, s20, s0
	v_lshlrev_b32_e32 v1, 3, v9
	s_addc_u32 s1, s21, s1
	s_mul_i32 s14, s14, s6
	s_mov_b32 s16, 0
	v_mov_b32_e32 v2, s1
	v_add_co_u32_e64 v12, s[0:1], s0, v1
	v_cmp_gt_i32_e32 vcc, s13, v9
	v_mul_lo_u32 v0, s13, v8
	s_mul_i32 s17, s14, s13
	v_addc_co_u32_e64 v13, s[0:1], 0, v2, s[0:1]
	s_lshl_b32 s19, s15, 3
	s_mov_b32 s20, s16
	s_mov_b64 s[4:5], 0
	v_mov_b32_e32 v2, 0
	s_movk_i32 s21, 0x7fff
	v_mov_b32_e32 v14, 0x7fc0
	s_branch .LBB11_6
.LBB11_5:                               ;   in Loop: Header=BB11_6 Depth=1
	s_or_b64 exec, exec, s[6:7]
	v_add_u32_e32 v8, s14, v8
	v_cmp_le_i32_e64 s[0:1], s12, v8
	s_or_b64 s[4:5], s[0:1], s[4:5]
	v_add_u32_e32 v0, s17, v0
	s_andn2_b64 exec, exec, s[4:5]
	s_cbranch_execz .LBB11_9
.LBB11_6:                               ; =>This Loop Header: Depth=1
                                        ;     Child Loop BB11_8 Depth 2
	s_and_saveexec_b64 s[6:7], vcc
	s_cbranch_execz .LBB11_5
; %bb.7:                                ;   in Loop: Header=BB11_6 Depth=1
	v_ashrrev_i32_e32 v1, 31, v0
	v_lshlrev_b64 v[4:5], 1, v[0:1]
	v_add_co_u32_e64 v4, s[0:1], v10, v4
	v_addc_co_u32_e64 v5, s[0:1], v11, v5, s[0:1]
	v_lshlrev_b64 v[6:7], 3, v[0:1]
	v_add_co_u32_e64 v6, s[0:1], v12, v6
	v_addc_co_u32_e64 v7, s[0:1], v13, v7, s[0:1]
	s_mov_b64 s[8:9], 0
	v_mov_b32_e32 v1, v9
.LBB11_8:                               ;   Parent Loop BB11_6 Depth=1
                                        ; =>  This Inner Loop Header: Depth=2
	global_load_dword v3, v[6:7], off
	v_mov_b32_e32 v15, s11
	global_load_ushort v18, v[4:5], off
	v_add_co_u32_e64 v4, s[2:3], s18, v4
	v_mov_b32_e32 v19, s20
	v_add_u32_e32 v1, s15, v1
	s_waitcnt vmcnt(1)
	v_ashrrev_i64 v[16:17], 31, v[2:3]
	v_add_co_u32_e64 v16, s[0:1], s10, v16
	v_addc_co_u32_e64 v17, s[0:1], v15, v17, s[0:1]
	global_load_ushort v3, v[16:17], off
	v_mov_b32_e32 v15, s16
	v_addc_co_u32_e64 v5, s[2:3], v5, v15, s[2:3]
	s_waitcnt vmcnt(1)
	v_lshlrev_b32_e32 v15, 16, v18
	v_add_co_u32_e64 v6, s[0:1], s19, v6
	v_addc_co_u32_e64 v7, s[0:1], v7, v19, s[0:1]
	v_cmp_le_i32_e64 s[0:1], s13, v1
	s_or_b64 s[8:9], s[0:1], s[8:9]
	s_waitcnt vmcnt(0)
	v_lshlrev_b32_e32 v3, 16, v3
	v_add_f32_e32 v3, v3, v15
	v_bfe_u32 v15, v3, 16, 1
	v_add3_u32 v15, v3, v15, s21
	v_lshrrev_b32_e32 v15, 16, v15
	v_cmp_o_f32_e64 s[0:1], v3, v3
	v_cndmask_b32_e64 v3, v14, v15, s[0:1]
	global_store_short v[16:17], v3, off
	s_andn2_b64 exec, exec, s[8:9]
	s_cbranch_execnz .LBB11_8
	s_branch .LBB11_5
.LBB11_9:
	s_endpgm
.LBB11_10:
                                        ; implicit-def: $sgpr0_sgpr1
	s_load_dword s1, s[4:5], 0x44
	s_branch .LBB11_2
	.section	.rodata,"a",@progbits
	.p2align	6, 0x0
	.amdhsa_kernel _ZN2at6native12_GLOBAL__N_120adaptivemaxgradinputIN3c108BFloat16EEEvPT_PKS5_PKliiiiiil
		.amdhsa_group_segment_fixed_size 0
		.amdhsa_private_segment_fixed_size 0
		.amdhsa_kernarg_size 312
		.amdhsa_user_sgpr_count 6
		.amdhsa_user_sgpr_private_segment_buffer 1
		.amdhsa_user_sgpr_dispatch_ptr 0
		.amdhsa_user_sgpr_queue_ptr 0
		.amdhsa_user_sgpr_kernarg_segment_ptr 1
		.amdhsa_user_sgpr_dispatch_id 0
		.amdhsa_user_sgpr_flat_scratch_init 0
		.amdhsa_user_sgpr_kernarg_preload_length 0
		.amdhsa_user_sgpr_kernarg_preload_offset 0
		.amdhsa_user_sgpr_private_segment_size 0
		.amdhsa_uses_dynamic_stack 0
		.amdhsa_system_sgpr_private_segment_wavefront_offset 0
		.amdhsa_system_sgpr_workgroup_id_x 1
		.amdhsa_system_sgpr_workgroup_id_y 1
		.amdhsa_system_sgpr_workgroup_id_z 0
		.amdhsa_system_sgpr_workgroup_info 0
		.amdhsa_system_vgpr_workitem_id 1
		.amdhsa_next_free_vgpr 20
		.amdhsa_next_free_sgpr 28
		.amdhsa_accum_offset 20
		.amdhsa_reserve_vcc 1
		.amdhsa_reserve_flat_scratch 0
		.amdhsa_float_round_mode_32 0
		.amdhsa_float_round_mode_16_64 0
		.amdhsa_float_denorm_mode_32 3
		.amdhsa_float_denorm_mode_16_64 3
		.amdhsa_dx10_clamp 1
		.amdhsa_ieee_mode 1
		.amdhsa_fp16_overflow 0
		.amdhsa_tg_split 0
		.amdhsa_exception_fp_ieee_invalid_op 0
		.amdhsa_exception_fp_denorm_src 0
		.amdhsa_exception_fp_ieee_div_zero 0
		.amdhsa_exception_fp_ieee_overflow 0
		.amdhsa_exception_fp_ieee_underflow 0
		.amdhsa_exception_fp_ieee_inexact 0
		.amdhsa_exception_int_div_zero 0
	.end_amdhsa_kernel
	.section	.text._ZN2at6native12_GLOBAL__N_120adaptivemaxgradinputIN3c108BFloat16EEEvPT_PKS5_PKliiiiiil,"axG",@progbits,_ZN2at6native12_GLOBAL__N_120adaptivemaxgradinputIN3c108BFloat16EEEvPT_PKS5_PKliiiiiil,comdat
.Lfunc_end11:
	.size	_ZN2at6native12_GLOBAL__N_120adaptivemaxgradinputIN3c108BFloat16EEEvPT_PKS5_PKliiiiiil, .Lfunc_end11-_ZN2at6native12_GLOBAL__N_120adaptivemaxgradinputIN3c108BFloat16EEEvPT_PKS5_PKliiiiiil
                                        ; -- End function
	.section	.AMDGPU.csdata,"",@progbits
; Kernel info:
; codeLenInByte = 1288
; NumSgprs: 32
; NumVgprs: 20
; NumAgprs: 0
; TotalNumVgprs: 20
; ScratchSize: 0
; MemoryBound: 0
; FloatMode: 240
; IeeeMode: 1
; LDSByteSize: 0 bytes/workgroup (compile time only)
; SGPRBlocks: 3
; VGPRBlocks: 2
; NumSGPRsForWavesPerEU: 32
; NumVGPRsForWavesPerEU: 20
; AccumOffset: 20
; Occupancy: 8
; WaveLimiterHint : 1
; COMPUTE_PGM_RSRC2:SCRATCH_EN: 0
; COMPUTE_PGM_RSRC2:USER_SGPR: 6
; COMPUTE_PGM_RSRC2:TRAP_HANDLER: 0
; COMPUTE_PGM_RSRC2:TGID_X_EN: 1
; COMPUTE_PGM_RSRC2:TGID_Y_EN: 1
; COMPUTE_PGM_RSRC2:TGID_Z_EN: 0
; COMPUTE_PGM_RSRC2:TIDIG_COMP_CNT: 1
; COMPUTE_PGM_RSRC3_GFX90A:ACCUM_OFFSET: 4
; COMPUTE_PGM_RSRC3_GFX90A:TG_SPLIT: 0
	.text
	.p2alignl 6, 3212836864
	.fill 256, 4, 3212836864
	.type	__hip_cuid_736f592b9f8af549,@object ; @__hip_cuid_736f592b9f8af549
	.section	.bss,"aw",@nobits
	.globl	__hip_cuid_736f592b9f8af549
__hip_cuid_736f592b9f8af549:
	.byte	0                               ; 0x0
	.size	__hip_cuid_736f592b9f8af549, 1

	.ident	"AMD clang version 19.0.0git (https://github.com/RadeonOpenCompute/llvm-project roc-6.4.0 25133 c7fe45cf4b819c5991fe208aaa96edf142730f1d)"
	.section	".note.GNU-stack","",@progbits
	.addrsig
	.addrsig_sym __hip_cuid_736f592b9f8af549
	.amdgpu_metadata
---
amdhsa.kernels:
  - .agpr_count:     0
    .args:
      - .address_space:  global
        .offset:         0
        .size:           8
        .value_kind:     global_buffer
      - .address_space:  global
        .offset:         8
        .size:           8
        .value_kind:     global_buffer
      - .address_space:  global
        .offset:         16
        .size:           8
        .value_kind:     global_buffer
      - .offset:         24
        .size:           4
        .value_kind:     by_value
      - .offset:         28
        .size:           4
        .value_kind:     by_value
      - .offset:         32
        .size:           4
        .value_kind:     by_value
      - .offset:         36
        .size:           4
        .value_kind:     by_value
      - .offset:         40
        .size:           4
        .value_kind:     by_value
      - .offset:         44
        .size:           4
        .value_kind:     by_value
      - .offset:         48
        .size:           8
        .value_kind:     by_value
      - .offset:         56
        .size:           8
        .value_kind:     by_value
      - .offset:         64
        .size:           8
        .value_kind:     by_value
      - .offset:         72
        .size:           8
        .value_kind:     by_value
      - .offset:         80
        .size:           8
        .value_kind:     by_value
      - .offset:         88
        .size:           4
        .value_kind:     hidden_block_count_x
      - .offset:         92
        .size:           4
        .value_kind:     hidden_block_count_y
      - .offset:         96
        .size:           4
        .value_kind:     hidden_block_count_z
      - .offset:         100
        .size:           2
        .value_kind:     hidden_group_size_x
      - .offset:         102
        .size:           2
        .value_kind:     hidden_group_size_y
      - .offset:         104
        .size:           2
        .value_kind:     hidden_group_size_z
      - .offset:         106
        .size:           2
        .value_kind:     hidden_remainder_x
      - .offset:         108
        .size:           2
        .value_kind:     hidden_remainder_y
      - .offset:         110
        .size:           2
        .value_kind:     hidden_remainder_z
      - .offset:         128
        .size:           8
        .value_kind:     hidden_global_offset_x
      - .offset:         136
        .size:           8
        .value_kind:     hidden_global_offset_y
      - .offset:         144
        .size:           8
        .value_kind:     hidden_global_offset_z
      - .offset:         152
        .size:           2
        .value_kind:     hidden_grid_dims
    .group_segment_fixed_size: 0
    .kernarg_segment_align: 8
    .kernarg_segment_size: 344
    .language:       OpenCL C
    .language_version:
      - 2
      - 0
    .max_flat_workgroup_size: 1024
    .name:           _ZN2at6native12_GLOBAL__N_115adaptivemaxpoolIdEEvPKT_PS3_Pliiiiiilllll
    .private_segment_fixed_size: 0
    .sgpr_count:     62
    .sgpr_spill_count: 0
    .symbol:         _ZN2at6native12_GLOBAL__N_115adaptivemaxpoolIdEEvPKT_PS3_Pliiiiiilllll.kd
    .uniform_work_group_size: 1
    .uses_dynamic_stack: false
    .vgpr_count:     33
    .vgpr_spill_count: 0
    .wavefront_size: 64
  - .agpr_count:     0
    .args:
      - .address_space:  global
        .offset:         0
        .size:           8
        .value_kind:     global_buffer
      - .address_space:  global
        .offset:         8
        .size:           8
        .value_kind:     global_buffer
      - .address_space:  global
        .offset:         16
        .size:           8
        .value_kind:     global_buffer
      - .offset:         24
        .size:           4
        .value_kind:     by_value
      - .offset:         28
        .size:           4
        .value_kind:     by_value
      - .offset:         32
        .size:           4
        .value_kind:     by_value
      - .offset:         36
        .size:           4
        .value_kind:     by_value
      - .offset:         40
        .size:           4
        .value_kind:     by_value
      - .offset:         44
        .size:           4
        .value_kind:     by_value
      - .offset:         48
        .size:           8
        .value_kind:     by_value
      - .offset:         56
        .size:           8
        .value_kind:     by_value
      - .offset:         64
        .size:           8
        .value_kind:     by_value
      - .offset:         72
        .size:           8
        .value_kind:     by_value
      - .offset:         80
        .size:           8
        .value_kind:     by_value
      - .offset:         88
        .size:           4
        .value_kind:     hidden_block_count_x
      - .offset:         92
        .size:           4
        .value_kind:     hidden_block_count_y
      - .offset:         96
        .size:           4
        .value_kind:     hidden_block_count_z
      - .offset:         100
        .size:           2
        .value_kind:     hidden_group_size_x
      - .offset:         102
        .size:           2
        .value_kind:     hidden_group_size_y
      - .offset:         104
        .size:           2
        .value_kind:     hidden_group_size_z
      - .offset:         106
        .size:           2
        .value_kind:     hidden_remainder_x
      - .offset:         108
        .size:           2
        .value_kind:     hidden_remainder_y
      - .offset:         110
        .size:           2
        .value_kind:     hidden_remainder_z
      - .offset:         128
        .size:           8
        .value_kind:     hidden_global_offset_x
      - .offset:         136
        .size:           8
        .value_kind:     hidden_global_offset_y
      - .offset:         144
        .size:           8
        .value_kind:     hidden_global_offset_z
      - .offset:         152
        .size:           2
        .value_kind:     hidden_grid_dims
    .group_segment_fixed_size: 0
    .kernarg_segment_align: 8
    .kernarg_segment_size: 344
    .language:       OpenCL C
    .language_version:
      - 2
      - 0
    .max_flat_workgroup_size: 1024
    .name:           _ZN2at6native12_GLOBAL__N_115adaptivemaxpoolIfEEvPKT_PS3_Pliiiiiilllll
    .private_segment_fixed_size: 0
    .sgpr_count:     62
    .sgpr_spill_count: 0
    .symbol:         _ZN2at6native12_GLOBAL__N_115adaptivemaxpoolIfEEvPKT_PS3_Pliiiiiilllll.kd
    .uniform_work_group_size: 1
    .uses_dynamic_stack: false
    .vgpr_count:     31
    .vgpr_spill_count: 0
    .wavefront_size: 64
  - .agpr_count:     0
    .args:
      - .address_space:  global
        .offset:         0
        .size:           8
        .value_kind:     global_buffer
      - .address_space:  global
        .offset:         8
        .size:           8
        .value_kind:     global_buffer
      - .address_space:  global
        .offset:         16
        .size:           8
        .value_kind:     global_buffer
      - .offset:         24
        .size:           4
        .value_kind:     by_value
      - .offset:         28
        .size:           4
        .value_kind:     by_value
      - .offset:         32
        .size:           4
        .value_kind:     by_value
      - .offset:         36
        .size:           4
        .value_kind:     by_value
      - .offset:         40
        .size:           4
        .value_kind:     by_value
      - .offset:         44
        .size:           4
        .value_kind:     by_value
      - .offset:         48
        .size:           8
        .value_kind:     by_value
      - .offset:         56
        .size:           8
        .value_kind:     by_value
      - .offset:         64
        .size:           8
        .value_kind:     by_value
      - .offset:         72
        .size:           8
        .value_kind:     by_value
      - .offset:         80
        .size:           8
        .value_kind:     by_value
      - .offset:         88
        .size:           4
        .value_kind:     hidden_block_count_x
      - .offset:         92
        .size:           4
        .value_kind:     hidden_block_count_y
      - .offset:         96
        .size:           4
        .value_kind:     hidden_block_count_z
      - .offset:         100
        .size:           2
        .value_kind:     hidden_group_size_x
      - .offset:         102
        .size:           2
        .value_kind:     hidden_group_size_y
      - .offset:         104
        .size:           2
        .value_kind:     hidden_group_size_z
      - .offset:         106
        .size:           2
        .value_kind:     hidden_remainder_x
      - .offset:         108
        .size:           2
        .value_kind:     hidden_remainder_y
      - .offset:         110
        .size:           2
        .value_kind:     hidden_remainder_z
      - .offset:         128
        .size:           8
        .value_kind:     hidden_global_offset_x
      - .offset:         136
        .size:           8
        .value_kind:     hidden_global_offset_y
      - .offset:         144
        .size:           8
        .value_kind:     hidden_global_offset_z
      - .offset:         152
        .size:           2
        .value_kind:     hidden_grid_dims
    .group_segment_fixed_size: 0
    .kernarg_segment_align: 8
    .kernarg_segment_size: 344
    .language:       OpenCL C
    .language_version:
      - 2
      - 0
    .max_flat_workgroup_size: 1024
    .name:           _ZN2at6native12_GLOBAL__N_115adaptivemaxpoolIN3c104HalfEEEvPKT_PS5_Pliiiiiilllll
    .private_segment_fixed_size: 0
    .sgpr_count:     62
    .sgpr_spill_count: 0
    .symbol:         _ZN2at6native12_GLOBAL__N_115adaptivemaxpoolIN3c104HalfEEEvPKT_PS5_Pliiiiiilllll.kd
    .uniform_work_group_size: 1
    .uses_dynamic_stack: false
    .vgpr_count:     31
    .vgpr_spill_count: 0
    .wavefront_size: 64
  - .agpr_count:     0
    .args:
      - .address_space:  global
        .offset:         0
        .size:           8
        .value_kind:     global_buffer
      - .address_space:  global
        .offset:         8
        .size:           8
        .value_kind:     global_buffer
      - .address_space:  global
        .offset:         16
        .size:           8
        .value_kind:     global_buffer
      - .offset:         24
        .size:           4
        .value_kind:     by_value
      - .offset:         28
        .size:           4
        .value_kind:     by_value
      - .offset:         32
        .size:           4
        .value_kind:     by_value
      - .offset:         36
        .size:           4
        .value_kind:     by_value
      - .offset:         40
        .size:           4
        .value_kind:     by_value
      - .offset:         44
        .size:           4
        .value_kind:     by_value
      - .offset:         48
        .size:           8
        .value_kind:     by_value
      - .offset:         56
        .size:           8
        .value_kind:     by_value
      - .offset:         64
        .size:           8
        .value_kind:     by_value
      - .offset:         72
        .size:           8
        .value_kind:     by_value
      - .offset:         80
        .size:           8
        .value_kind:     by_value
      - .offset:         88
        .size:           4
        .value_kind:     hidden_block_count_x
      - .offset:         92
        .size:           4
        .value_kind:     hidden_block_count_y
      - .offset:         96
        .size:           4
        .value_kind:     hidden_block_count_z
      - .offset:         100
        .size:           2
        .value_kind:     hidden_group_size_x
      - .offset:         102
        .size:           2
        .value_kind:     hidden_group_size_y
      - .offset:         104
        .size:           2
        .value_kind:     hidden_group_size_z
      - .offset:         106
        .size:           2
        .value_kind:     hidden_remainder_x
      - .offset:         108
        .size:           2
        .value_kind:     hidden_remainder_y
      - .offset:         110
        .size:           2
        .value_kind:     hidden_remainder_z
      - .offset:         128
        .size:           8
        .value_kind:     hidden_global_offset_x
      - .offset:         136
        .size:           8
        .value_kind:     hidden_global_offset_y
      - .offset:         144
        .size:           8
        .value_kind:     hidden_global_offset_z
      - .offset:         152
        .size:           2
        .value_kind:     hidden_grid_dims
    .group_segment_fixed_size: 0
    .kernarg_segment_align: 8
    .kernarg_segment_size: 344
    .language:       OpenCL C
    .language_version:
      - 2
      - 0
    .max_flat_workgroup_size: 1024
    .name:           _ZN2at6native12_GLOBAL__N_115adaptivemaxpoolIN3c108BFloat16EEEvPKT_PS5_Pliiiiiilllll
    .private_segment_fixed_size: 0
    .sgpr_count:     62
    .sgpr_spill_count: 0
    .symbol:         _ZN2at6native12_GLOBAL__N_115adaptivemaxpoolIN3c108BFloat16EEEvPKT_PS5_Pliiiiiilllll.kd
    .uniform_work_group_size: 1
    .uses_dynamic_stack: false
    .vgpr_count:     32
    .vgpr_spill_count: 0
    .wavefront_size: 64
  - .agpr_count:     0
    .args:
      - .address_space:  global
        .offset:         0
        .size:           8
        .value_kind:     global_buffer
      - .address_space:  global
        .offset:         8
        .size:           8
        .value_kind:     global_buffer
      - .address_space:  global
        .offset:         16
        .size:           8
        .value_kind:     global_buffer
      - .offset:         24
        .size:           4
        .value_kind:     by_value
      - .offset:         28
        .size:           4
        .value_kind:     by_value
      - .offset:         32
        .size:           4
        .value_kind:     by_value
      - .offset:         36
        .size:           4
        .value_kind:     by_value
      - .offset:         40
        .size:           4
        .value_kind:     by_value
      - .offset:         44
        .size:           4
        .value_kind:     by_value
      - .offset:         48
        .size:           8
        .value_kind:     by_value
      - .offset:         56
        .size:           4
        .value_kind:     hidden_block_count_x
      - .offset:         60
        .size:           4
        .value_kind:     hidden_block_count_y
      - .offset:         64
        .size:           4
        .value_kind:     hidden_block_count_z
      - .offset:         68
        .size:           2
        .value_kind:     hidden_group_size_x
      - .offset:         70
        .size:           2
        .value_kind:     hidden_group_size_y
      - .offset:         72
        .size:           2
        .value_kind:     hidden_group_size_z
      - .offset:         74
        .size:           2
        .value_kind:     hidden_remainder_x
      - .offset:         76
        .size:           2
        .value_kind:     hidden_remainder_y
      - .offset:         78
        .size:           2
        .value_kind:     hidden_remainder_z
      - .offset:         96
        .size:           8
        .value_kind:     hidden_global_offset_x
      - .offset:         104
        .size:           8
        .value_kind:     hidden_global_offset_y
      - .offset:         112
        .size:           8
        .value_kind:     hidden_global_offset_z
      - .offset:         120
        .size:           2
        .value_kind:     hidden_grid_dims
    .group_segment_fixed_size: 0
    .kernarg_segment_align: 8
    .kernarg_segment_size: 312
    .language:       OpenCL C
    .language_version:
      - 2
      - 0
    .max_flat_workgroup_size: 1024
    .name:           _ZN2at6native12_GLOBAL__N_126atomicadaptivemaxgradinputIdEEvPT_PKS3_PKliiiiiil
    .private_segment_fixed_size: 0
    .sgpr_count:     32
    .sgpr_spill_count: 0
    .symbol:         _ZN2at6native12_GLOBAL__N_126atomicadaptivemaxgradinputIdEEvPT_PKS3_PKliiiiiil.kd
    .uniform_work_group_size: 1
    .uses_dynamic_stack: false
    .vgpr_count:     13
    .vgpr_spill_count: 0
    .wavefront_size: 64
  - .agpr_count:     0
    .args:
      - .address_space:  global
        .offset:         0
        .size:           8
        .value_kind:     global_buffer
      - .address_space:  global
        .offset:         8
        .size:           8
        .value_kind:     global_buffer
      - .address_space:  global
        .offset:         16
        .size:           8
        .value_kind:     global_buffer
      - .offset:         24
        .size:           4
        .value_kind:     by_value
      - .offset:         28
        .size:           4
        .value_kind:     by_value
      - .offset:         32
        .size:           4
        .value_kind:     by_value
      - .offset:         36
        .size:           4
        .value_kind:     by_value
      - .offset:         40
        .size:           4
        .value_kind:     by_value
      - .offset:         44
        .size:           4
        .value_kind:     by_value
      - .offset:         48
        .size:           8
        .value_kind:     by_value
      - .offset:         56
        .size:           4
        .value_kind:     hidden_block_count_x
      - .offset:         60
        .size:           4
        .value_kind:     hidden_block_count_y
      - .offset:         64
        .size:           4
        .value_kind:     hidden_block_count_z
      - .offset:         68
        .size:           2
        .value_kind:     hidden_group_size_x
      - .offset:         70
        .size:           2
        .value_kind:     hidden_group_size_y
      - .offset:         72
        .size:           2
        .value_kind:     hidden_group_size_z
      - .offset:         74
        .size:           2
        .value_kind:     hidden_remainder_x
      - .offset:         76
        .size:           2
        .value_kind:     hidden_remainder_y
      - .offset:         78
        .size:           2
        .value_kind:     hidden_remainder_z
      - .offset:         96
        .size:           8
        .value_kind:     hidden_global_offset_x
      - .offset:         104
        .size:           8
        .value_kind:     hidden_global_offset_y
      - .offset:         112
        .size:           8
        .value_kind:     hidden_global_offset_z
      - .offset:         120
        .size:           2
        .value_kind:     hidden_grid_dims
    .group_segment_fixed_size: 0
    .kernarg_segment_align: 8
    .kernarg_segment_size: 312
    .language:       OpenCL C
    .language_version:
      - 2
      - 0
    .max_flat_workgroup_size: 1024
    .name:           _ZN2at6native12_GLOBAL__N_126atomicadaptivemaxgradinputIfEEvPT_PKS3_PKliiiiiil
    .private_segment_fixed_size: 0
    .sgpr_count:     32
    .sgpr_spill_count: 0
    .symbol:         _ZN2at6native12_GLOBAL__N_126atomicadaptivemaxgradinputIfEEvPT_PKS3_PKliiiiiil.kd
    .uniform_work_group_size: 1
    .uses_dynamic_stack: false
    .vgpr_count:     16
    .vgpr_spill_count: 0
    .wavefront_size: 64
  - .agpr_count:     0
    .args:
      - .address_space:  global
        .offset:         0
        .size:           8
        .value_kind:     global_buffer
      - .address_space:  global
        .offset:         8
        .size:           8
        .value_kind:     global_buffer
      - .address_space:  global
        .offset:         16
        .size:           8
        .value_kind:     global_buffer
      - .offset:         24
        .size:           4
        .value_kind:     by_value
      - .offset:         28
        .size:           4
        .value_kind:     by_value
      - .offset:         32
        .size:           4
        .value_kind:     by_value
      - .offset:         36
        .size:           4
        .value_kind:     by_value
      - .offset:         40
        .size:           4
        .value_kind:     by_value
      - .offset:         44
        .size:           4
        .value_kind:     by_value
      - .offset:         48
        .size:           8
        .value_kind:     by_value
      - .offset:         56
        .size:           4
        .value_kind:     hidden_block_count_x
      - .offset:         60
        .size:           4
        .value_kind:     hidden_block_count_y
      - .offset:         64
        .size:           4
        .value_kind:     hidden_block_count_z
      - .offset:         68
        .size:           2
        .value_kind:     hidden_group_size_x
      - .offset:         70
        .size:           2
        .value_kind:     hidden_group_size_y
      - .offset:         72
        .size:           2
        .value_kind:     hidden_group_size_z
      - .offset:         74
        .size:           2
        .value_kind:     hidden_remainder_x
      - .offset:         76
        .size:           2
        .value_kind:     hidden_remainder_y
      - .offset:         78
        .size:           2
        .value_kind:     hidden_remainder_z
      - .offset:         96
        .size:           8
        .value_kind:     hidden_global_offset_x
      - .offset:         104
        .size:           8
        .value_kind:     hidden_global_offset_y
      - .offset:         112
        .size:           8
        .value_kind:     hidden_global_offset_z
      - .offset:         120
        .size:           2
        .value_kind:     hidden_grid_dims
    .group_segment_fixed_size: 0
    .kernarg_segment_align: 8
    .kernarg_segment_size: 312
    .language:       OpenCL C
    .language_version:
      - 2
      - 0
    .max_flat_workgroup_size: 1024
    .name:           _ZN2at6native12_GLOBAL__N_126atomicadaptivemaxgradinputIN3c104HalfEEEvPT_PKS5_PKliiiiiil
    .private_segment_fixed_size: 0
    .sgpr_count:     32
    .sgpr_spill_count: 0
    .symbol:         _ZN2at6native12_GLOBAL__N_126atomicadaptivemaxgradinputIN3c104HalfEEEvPT_PKS5_PKliiiiiil.kd
    .uniform_work_group_size: 1
    .uses_dynamic_stack: false
    .vgpr_count:     16
    .vgpr_spill_count: 0
    .wavefront_size: 64
  - .agpr_count:     0
    .args:
      - .address_space:  global
        .offset:         0
        .size:           8
        .value_kind:     global_buffer
      - .address_space:  global
        .offset:         8
        .size:           8
        .value_kind:     global_buffer
      - .address_space:  global
        .offset:         16
        .size:           8
        .value_kind:     global_buffer
      - .offset:         24
        .size:           4
        .value_kind:     by_value
      - .offset:         28
        .size:           4
        .value_kind:     by_value
      - .offset:         32
        .size:           4
        .value_kind:     by_value
      - .offset:         36
        .size:           4
        .value_kind:     by_value
      - .offset:         40
        .size:           4
        .value_kind:     by_value
      - .offset:         44
        .size:           4
        .value_kind:     by_value
      - .offset:         48
        .size:           8
        .value_kind:     by_value
      - .offset:         56
        .size:           4
        .value_kind:     hidden_block_count_x
      - .offset:         60
        .size:           4
        .value_kind:     hidden_block_count_y
      - .offset:         64
        .size:           4
        .value_kind:     hidden_block_count_z
      - .offset:         68
        .size:           2
        .value_kind:     hidden_group_size_x
      - .offset:         70
        .size:           2
        .value_kind:     hidden_group_size_y
      - .offset:         72
        .size:           2
        .value_kind:     hidden_group_size_z
      - .offset:         74
        .size:           2
        .value_kind:     hidden_remainder_x
      - .offset:         76
        .size:           2
        .value_kind:     hidden_remainder_y
      - .offset:         78
        .size:           2
        .value_kind:     hidden_remainder_z
      - .offset:         96
        .size:           8
        .value_kind:     hidden_global_offset_x
      - .offset:         104
        .size:           8
        .value_kind:     hidden_global_offset_y
      - .offset:         112
        .size:           8
        .value_kind:     hidden_global_offset_z
      - .offset:         120
        .size:           2
        .value_kind:     hidden_grid_dims
    .group_segment_fixed_size: 0
    .kernarg_segment_align: 8
    .kernarg_segment_size: 312
    .language:       OpenCL C
    .language_version:
      - 2
      - 0
    .max_flat_workgroup_size: 1024
    .name:           _ZN2at6native12_GLOBAL__N_126atomicadaptivemaxgradinputIN3c108BFloat16EEEvPT_PKS5_PKliiiiiil
    .private_segment_fixed_size: 0
    .sgpr_count:     32
    .sgpr_spill_count: 0
    .symbol:         _ZN2at6native12_GLOBAL__N_126atomicadaptivemaxgradinputIN3c108BFloat16EEEvPT_PKS5_PKliiiiiil.kd
    .uniform_work_group_size: 1
    .uses_dynamic_stack: false
    .vgpr_count:     16
    .vgpr_spill_count: 0
    .wavefront_size: 64
  - .agpr_count:     0
    .args:
      - .address_space:  global
        .offset:         0
        .size:           8
        .value_kind:     global_buffer
      - .address_space:  global
        .offset:         8
        .size:           8
        .value_kind:     global_buffer
      - .address_space:  global
        .offset:         16
        .size:           8
        .value_kind:     global_buffer
      - .offset:         24
        .size:           4
        .value_kind:     by_value
      - .offset:         28
        .size:           4
        .value_kind:     by_value
      - .offset:         32
        .size:           4
        .value_kind:     by_value
      - .offset:         36
        .size:           4
        .value_kind:     by_value
      - .offset:         40
        .size:           4
        .value_kind:     by_value
      - .offset:         44
        .size:           4
        .value_kind:     by_value
      - .offset:         48
        .size:           8
        .value_kind:     by_value
      - .offset:         56
        .size:           4
        .value_kind:     hidden_block_count_x
      - .offset:         60
        .size:           4
        .value_kind:     hidden_block_count_y
      - .offset:         64
        .size:           4
        .value_kind:     hidden_block_count_z
      - .offset:         68
        .size:           2
        .value_kind:     hidden_group_size_x
      - .offset:         70
        .size:           2
        .value_kind:     hidden_group_size_y
      - .offset:         72
        .size:           2
        .value_kind:     hidden_group_size_z
      - .offset:         74
        .size:           2
        .value_kind:     hidden_remainder_x
      - .offset:         76
        .size:           2
        .value_kind:     hidden_remainder_y
      - .offset:         78
        .size:           2
        .value_kind:     hidden_remainder_z
      - .offset:         96
        .size:           8
        .value_kind:     hidden_global_offset_x
      - .offset:         104
        .size:           8
        .value_kind:     hidden_global_offset_y
      - .offset:         112
        .size:           8
        .value_kind:     hidden_global_offset_z
      - .offset:         120
        .size:           2
        .value_kind:     hidden_grid_dims
    .group_segment_fixed_size: 0
    .kernarg_segment_align: 8
    .kernarg_segment_size: 312
    .language:       OpenCL C
    .language_version:
      - 2
      - 0
    .max_flat_workgroup_size: 1024
    .name:           _ZN2at6native12_GLOBAL__N_120adaptivemaxgradinputIdEEvPT_PKS3_PKliiiiiil
    .private_segment_fixed_size: 0
    .sgpr_count:     32
    .sgpr_spill_count: 0
    .symbol:         _ZN2at6native12_GLOBAL__N_120adaptivemaxgradinputIdEEvPT_PKS3_PKliiiiiil.kd
    .uniform_work_group_size: 1
    .uses_dynamic_stack: false
    .vgpr_count:     16
    .vgpr_spill_count: 0
    .wavefront_size: 64
  - .agpr_count:     0
    .args:
      - .address_space:  global
        .offset:         0
        .size:           8
        .value_kind:     global_buffer
      - .address_space:  global
        .offset:         8
        .size:           8
        .value_kind:     global_buffer
      - .address_space:  global
        .offset:         16
        .size:           8
        .value_kind:     global_buffer
      - .offset:         24
        .size:           4
        .value_kind:     by_value
      - .offset:         28
        .size:           4
        .value_kind:     by_value
      - .offset:         32
        .size:           4
        .value_kind:     by_value
      - .offset:         36
        .size:           4
        .value_kind:     by_value
      - .offset:         40
        .size:           4
        .value_kind:     by_value
      - .offset:         44
        .size:           4
        .value_kind:     by_value
      - .offset:         48
        .size:           8
        .value_kind:     by_value
      - .offset:         56
        .size:           4
        .value_kind:     hidden_block_count_x
      - .offset:         60
        .size:           4
        .value_kind:     hidden_block_count_y
      - .offset:         64
        .size:           4
        .value_kind:     hidden_block_count_z
      - .offset:         68
        .size:           2
        .value_kind:     hidden_group_size_x
      - .offset:         70
        .size:           2
        .value_kind:     hidden_group_size_y
      - .offset:         72
        .size:           2
        .value_kind:     hidden_group_size_z
      - .offset:         74
        .size:           2
        .value_kind:     hidden_remainder_x
      - .offset:         76
        .size:           2
        .value_kind:     hidden_remainder_y
      - .offset:         78
        .size:           2
        .value_kind:     hidden_remainder_z
      - .offset:         96
        .size:           8
        .value_kind:     hidden_global_offset_x
      - .offset:         104
        .size:           8
        .value_kind:     hidden_global_offset_y
      - .offset:         112
        .size:           8
        .value_kind:     hidden_global_offset_z
      - .offset:         120
        .size:           2
        .value_kind:     hidden_grid_dims
    .group_segment_fixed_size: 0
    .kernarg_segment_align: 8
    .kernarg_segment_size: 312
    .language:       OpenCL C
    .language_version:
      - 2
      - 0
    .max_flat_workgroup_size: 1024
    .name:           _ZN2at6native12_GLOBAL__N_120adaptivemaxgradinputIfEEvPT_PKS3_PKliiiiiil
    .private_segment_fixed_size: 0
    .sgpr_count:     32
    .sgpr_spill_count: 0
    .symbol:         _ZN2at6native12_GLOBAL__N_120adaptivemaxgradinputIfEEvPT_PKS3_PKliiiiiil.kd
    .uniform_work_group_size: 1
    .uses_dynamic_stack: false
    .vgpr_count:     19
    .vgpr_spill_count: 0
    .wavefront_size: 64
  - .agpr_count:     0
    .args:
      - .address_space:  global
        .offset:         0
        .size:           8
        .value_kind:     global_buffer
      - .address_space:  global
        .offset:         8
        .size:           8
        .value_kind:     global_buffer
      - .address_space:  global
        .offset:         16
        .size:           8
        .value_kind:     global_buffer
      - .offset:         24
        .size:           4
        .value_kind:     by_value
      - .offset:         28
        .size:           4
        .value_kind:     by_value
      - .offset:         32
        .size:           4
        .value_kind:     by_value
      - .offset:         36
        .size:           4
        .value_kind:     by_value
      - .offset:         40
        .size:           4
        .value_kind:     by_value
      - .offset:         44
        .size:           4
        .value_kind:     by_value
      - .offset:         48
        .size:           8
        .value_kind:     by_value
      - .offset:         56
        .size:           4
        .value_kind:     hidden_block_count_x
      - .offset:         60
        .size:           4
        .value_kind:     hidden_block_count_y
      - .offset:         64
        .size:           4
        .value_kind:     hidden_block_count_z
      - .offset:         68
        .size:           2
        .value_kind:     hidden_group_size_x
      - .offset:         70
        .size:           2
        .value_kind:     hidden_group_size_y
      - .offset:         72
        .size:           2
        .value_kind:     hidden_group_size_z
      - .offset:         74
        .size:           2
        .value_kind:     hidden_remainder_x
      - .offset:         76
        .size:           2
        .value_kind:     hidden_remainder_y
      - .offset:         78
        .size:           2
        .value_kind:     hidden_remainder_z
      - .offset:         96
        .size:           8
        .value_kind:     hidden_global_offset_x
      - .offset:         104
        .size:           8
        .value_kind:     hidden_global_offset_y
      - .offset:         112
        .size:           8
        .value_kind:     hidden_global_offset_z
      - .offset:         120
        .size:           2
        .value_kind:     hidden_grid_dims
    .group_segment_fixed_size: 0
    .kernarg_segment_align: 8
    .kernarg_segment_size: 312
    .language:       OpenCL C
    .language_version:
      - 2
      - 0
    .max_flat_workgroup_size: 1024
    .name:           _ZN2at6native12_GLOBAL__N_120adaptivemaxgradinputIN3c104HalfEEEvPT_PKS5_PKliiiiiil
    .private_segment_fixed_size: 0
    .sgpr_count:     32
    .sgpr_spill_count: 0
    .symbol:         _ZN2at6native12_GLOBAL__N_120adaptivemaxgradinputIN3c104HalfEEEvPT_PKS5_PKliiiiiil.kd
    .uniform_work_group_size: 1
    .uses_dynamic_stack: false
    .vgpr_count:     19
    .vgpr_spill_count: 0
    .wavefront_size: 64
  - .agpr_count:     0
    .args:
      - .address_space:  global
        .offset:         0
        .size:           8
        .value_kind:     global_buffer
      - .address_space:  global
        .offset:         8
        .size:           8
        .value_kind:     global_buffer
      - .address_space:  global
        .offset:         16
        .size:           8
        .value_kind:     global_buffer
      - .offset:         24
        .size:           4
        .value_kind:     by_value
      - .offset:         28
        .size:           4
        .value_kind:     by_value
      - .offset:         32
        .size:           4
        .value_kind:     by_value
      - .offset:         36
        .size:           4
        .value_kind:     by_value
      - .offset:         40
        .size:           4
        .value_kind:     by_value
      - .offset:         44
        .size:           4
        .value_kind:     by_value
      - .offset:         48
        .size:           8
        .value_kind:     by_value
      - .offset:         56
        .size:           4
        .value_kind:     hidden_block_count_x
      - .offset:         60
        .size:           4
        .value_kind:     hidden_block_count_y
      - .offset:         64
        .size:           4
        .value_kind:     hidden_block_count_z
      - .offset:         68
        .size:           2
        .value_kind:     hidden_group_size_x
      - .offset:         70
        .size:           2
        .value_kind:     hidden_group_size_y
      - .offset:         72
        .size:           2
        .value_kind:     hidden_group_size_z
      - .offset:         74
        .size:           2
        .value_kind:     hidden_remainder_x
      - .offset:         76
        .size:           2
        .value_kind:     hidden_remainder_y
      - .offset:         78
        .size:           2
        .value_kind:     hidden_remainder_z
      - .offset:         96
        .size:           8
        .value_kind:     hidden_global_offset_x
      - .offset:         104
        .size:           8
        .value_kind:     hidden_global_offset_y
      - .offset:         112
        .size:           8
        .value_kind:     hidden_global_offset_z
      - .offset:         120
        .size:           2
        .value_kind:     hidden_grid_dims
    .group_segment_fixed_size: 0
    .kernarg_segment_align: 8
    .kernarg_segment_size: 312
    .language:       OpenCL C
    .language_version:
      - 2
      - 0
    .max_flat_workgroup_size: 1024
    .name:           _ZN2at6native12_GLOBAL__N_120adaptivemaxgradinputIN3c108BFloat16EEEvPT_PKS5_PKliiiiiil
    .private_segment_fixed_size: 0
    .sgpr_count:     32
    .sgpr_spill_count: 0
    .symbol:         _ZN2at6native12_GLOBAL__N_120adaptivemaxgradinputIN3c108BFloat16EEEvPT_PKS5_PKliiiiiil.kd
    .uniform_work_group_size: 1
    .uses_dynamic_stack: false
    .vgpr_count:     20
    .vgpr_spill_count: 0
    .wavefront_size: 64
amdhsa.target:   amdgcn-amd-amdhsa--gfx90a
amdhsa.version:
  - 1
  - 2
...

	.end_amdgpu_metadata
